;; amdgpu-corpus repo=ROCm/rocFFT kind=compiled arch=gfx1100 opt=O3
	.text
	.amdgcn_target "amdgcn-amd-amdhsa--gfx1100"
	.amdhsa_code_object_version 6
	.protected	bluestein_single_fwd_len900_dim1_dp_op_CI_CI ; -- Begin function bluestein_single_fwd_len900_dim1_dp_op_CI_CI
	.globl	bluestein_single_fwd_len900_dim1_dp_op_CI_CI
	.p2align	8
	.type	bluestein_single_fwd_len900_dim1_dp_op_CI_CI,@function
bluestein_single_fwd_len900_dim1_dp_op_CI_CI: ; @bluestein_single_fwd_len900_dim1_dp_op_CI_CI
; %bb.0:
	s_load_b128 s[16:19], s[0:1], 0x28
	v_mul_u32_u24_e32 v1, 0x2d9, v0
	v_mov_b32_e32 v189, 0
	s_mov_b32 s2, exec_lo
	s_delay_alu instid0(VALU_DEP_2) | instskip(NEXT) | instid1(VALU_DEP_1)
	v_lshrrev_b32_e32 v40, 16, v1
	v_lshl_add_u32 v188, s15, 1, v40
	s_waitcnt lgkmcnt(0)
	s_delay_alu instid0(VALU_DEP_1)
	v_cmpx_gt_u64_e64 s[16:17], v[188:189]
	s_cbranch_execz .LBB0_18
; %bb.1:
	s_clause 0x1
	s_load_b128 s[4:7], s[0:1], 0x18
	s_load_b128 s[8:11], s[0:1], 0x0
	v_mul_lo_u16 v1, 0x5a, v40
	s_mov_b32 s16, 0x372fe950
	s_mov_b32 s17, 0x3fd3c6ef
	v_and_b32_e32 v40, 1, v40
	s_delay_alu instid0(VALU_DEP_2)
	v_sub_nc_u16 v80, v0, v1
	s_waitcnt lgkmcnt(0)
	s_load_b128 s[12:15], s[4:5], 0x0
	s_waitcnt lgkmcnt(0)
	v_mad_u64_u32 v[12:13], null, s14, v188, 0
	v_and_b32_e32 v189, 0xffff, v80
	s_mul_hi_u32 s3, s12, 0x5a0
	s_mul_i32 s4, s12, 0x5a0
	s_delay_alu instid0(VALU_DEP_2) | instskip(NEXT) | instid1(VALU_DEP_2)
	v_mov_b32_e32 v8, v13
	v_mad_u64_u32 v[14:15], null, s12, v189, 0
	v_lshlrev_b32_e32 v79, 4, v189
	s_clause 0x1
	global_load_b128 v[0:3], v79, s[8:9]
	global_load_b128 v[4:7], v79, s[8:9] offset:1440
	v_mov_b32_e32 v13, v15
	v_mad_u64_u32 v[15:16], null, s15, v188, v[8:9]
	v_add_co_u32 v201, s2, s8, v79
	s_delay_alu instid0(VALU_DEP_3) | instskip(SKIP_1) | instid1(VALU_DEP_4)
	v_mad_u64_u32 v[16:17], null, s13, v189, v[13:14]
	v_add_co_ci_u32_e64 v202, null, s9, 0, s2
	v_mov_b32_e32 v13, v15
	s_delay_alu instid0(VALU_DEP_4) | instskip(NEXT) | instid1(VALU_DEP_3)
	v_add_co_u32 v20, vcc_lo, 0x1000, v201
	v_add_co_ci_u32_e32 v21, vcc_lo, 0, v202, vcc_lo
	v_add_co_u32 v32, vcc_lo, 0x2000, v201
	v_mov_b32_e32 v15, v16
	v_lshlrev_b64 v[12:13], 4, v[12:13]
	v_add_co_ci_u32_e32 v33, vcc_lo, 0, v202, vcc_lo
	v_add_co_u32 v191, vcc_lo, 0x3000, v201
	v_add_co_ci_u32_e32 v192, vcc_lo, 0, v202, vcc_lo
	v_lshlrev_b64 v[14:15], 4, v[14:15]
	v_add_co_u32 v12, vcc_lo, s18, v12
	v_add_co_ci_u32_e32 v13, vcc_lo, s19, v13, vcc_lo
	s_mul_i32 s2, s13, 0x5a0
	s_delay_alu instid0(VALU_DEP_2) | instskip(NEXT) | instid1(VALU_DEP_2)
	v_add_co_u32 v34, vcc_lo, v12, v14
	v_add_co_ci_u32_e32 v35, vcc_lo, v13, v15, vcc_lo
	s_add_i32 s3, s3, s2
	s_delay_alu instid0(VALU_DEP_2) | instskip(NEXT) | instid1(VALU_DEP_2)
	v_add_co_u32 v36, vcc_lo, v34, s4
	v_add_co_ci_u32_e32 v37, vcc_lo, s3, v35, vcc_lo
	global_load_b128 v[8:11], v79, s[8:9] offset:2880
	v_add_co_u32 v38, vcc_lo, v36, s4
	v_add_co_ci_u32_e32 v39, vcc_lo, s3, v37, vcc_lo
	s_clause 0x1
	global_load_b128 v[16:19], v[20:21], off offset:224
	global_load_b128 v[12:15], v[20:21], off offset:1664
	v_add_co_u32 v53, vcc_lo, v38, s4
	v_add_co_ci_u32_e32 v54, vcc_lo, s3, v39, vcc_lo
	global_load_b128 v[20:23], v[20:21], off offset:3104
	v_add_co_u32 v57, vcc_lo, v53, s4
	v_add_co_ci_u32_e32 v58, vcc_lo, s3, v54, vcc_lo
	s_clause 0x1
	global_load_b128 v[28:31], v[32:33], off offset:448
	global_load_b128 v[24:27], v[32:33], off offset:1888
	s_clause 0x1
	global_load_b128 v[41:44], v[34:35], off
	global_load_b128 v[45:48], v[36:37], off
	v_add_co_u32 v34, vcc_lo, v57, s4
	v_add_co_ci_u32_e32 v35, vcc_lo, s3, v58, vcc_lo
	s_clause 0x1
	global_load_b128 v[49:52], v[38:39], off
	global_load_b128 v[53:56], v[53:54], off
	v_add_co_u32 v36, vcc_lo, v34, s4
	v_add_co_ci_u32_e32 v37, vcc_lo, s3, v35, vcc_lo
	global_load_b128 v[57:60], v[57:58], off
	v_add_co_u32 v38, vcc_lo, v36, s4
	v_add_co_ci_u32_e32 v39, vcc_lo, s3, v37, vcc_lo
	;; [unrolled: 3-line block ×4, first 2 shown]
	global_load_b128 v[69:72], v[38:39], off
	global_load_b128 v[32:35], v[32:33], off offset:3328
	global_load_b128 v[73:76], v[73:74], off
	global_load_b128 v[36:39], v[191:192], off offset:672
	global_load_b128 v[81:84], v[77:78], off
	v_cmp_eq_u32_e32 vcc_lo, 1, v40
	s_load_b128 s[4:7], s[6:7], 0x0
	s_mov_b32 s8, 0x134454ff
	s_mov_b32 s9, 0x3fee6f0e
	;; [unrolled: 1-line block ×3, first 2 shown]
	v_cndmask_b32_e64 v40, 0, 0x384, vcc_lo
	s_mov_b32 s2, s8
	s_mov_b32 s14, 0x4755a5e
	s_mov_b32 s15, 0x3fe2cf23
	s_mov_b32 s13, 0xbfe2cf23
	v_lshlrev_b32_e32 v200, 4, v40
	s_mov_b32 s12, s14
	s_mov_b32 s18, 0x9b97f4a8
	;; [unrolled: 1-line block ×3, first 2 shown]
	v_cmp_gt_u16_e32 vcc_lo, 30, v80
	v_add_nc_u32_e32 v199, v200, v79
	s_waitcnt vmcnt(11)
	v_mul_f64 v[77:78], v[43:44], v[2:3]
	v_mul_f64 v[85:86], v[41:42], v[2:3]
	s_waitcnt vmcnt(10)
	v_mul_f64 v[87:88], v[47:48], v[6:7]
	v_mul_f64 v[89:90], v[45:46], v[6:7]
	;; [unrolled: 3-line block ×10, first 2 shown]
	v_fma_f64 v[41:42], v[41:42], v[0:1], v[77:78]
	v_fma_f64 v[43:44], v[43:44], v[0:1], -v[85:86]
	v_fma_f64 v[45:46], v[45:46], v[4:5], v[87:88]
	v_fma_f64 v[47:48], v[47:48], v[4:5], -v[89:90]
	;; [unrolled: 2-line block ×10, first 2 shown]
	ds_store_b128 v199, v[41:44]
	ds_store_b128 v199, v[45:48] offset:1440
	ds_store_b128 v199, v[49:52] offset:2880
	;; [unrolled: 1-line block ×9, first 2 shown]
	s_waitcnt lgkmcnt(0)
	s_barrier
	buffer_gl0_inv
	ds_load_b128 v[40:43], v199 offset:4320
	ds_load_b128 v[44:47], v199 offset:7200
	;; [unrolled: 1-line block ×5, first 2 shown]
	s_waitcnt lgkmcnt(3)
	v_add_f64 v[105:106], v[40:41], -v[44:45]
	s_waitcnt lgkmcnt(2)
	v_add_f64 v[60:61], v[44:45], v[48:49]
	s_waitcnt lgkmcnt(1)
	v_add_f64 v[62:63], v[42:43], v[54:55]
	v_add_f64 v[64:65], v[40:41], v[52:53]
	;; [unrolled: 1-line block ×3, first 2 shown]
	v_add_f64 v[81:82], v[42:43], -v[54:55]
	v_add_f64 v[85:86], v[44:45], -v[48:49]
	v_add_f64 v[83:84], v[46:47], -v[50:51]
	v_add_f64 v[93:94], v[40:41], -v[52:53]
	v_add_f64 v[107:108], v[52:53], -v[48:49]
	v_add_f64 v[113:114], v[46:47], -v[42:43]
	v_add_f64 v[115:116], v[50:51], -v[54:55]
	v_add_f64 v[109:110], v[44:45], -v[40:41]
	v_add_f64 v[111:112], v[48:49], -v[52:53]
	v_add_f64 v[117:118], v[42:43], -v[46:47]
	v_add_f64 v[125:126], v[54:55], -v[50:51]
	s_waitcnt lgkmcnt(0)
	v_add_f64 v[40:41], v[56:57], v[40:41]
	v_add_f64 v[42:43], v[58:59], v[42:43]
	v_fma_f64 v[87:88], v[60:61], -0.5, v[56:57]
	v_fma_f64 v[89:90], v[62:63], -0.5, v[58:59]
	;; [unrolled: 1-line block ×4, first 2 shown]
	ds_load_b128 v[60:63], v199 offset:2880
	ds_load_b128 v[64:67], v199 offset:5760
	;; [unrolled: 1-line block ×4, first 2 shown]
	ds_load_b128 v[76:79], v199
	s_waitcnt lgkmcnt(0)
	s_barrier
	buffer_gl0_inv
	v_add_f64 v[40:41], v[40:41], v[44:45]
	v_add_f64 v[42:43], v[42:43], v[46:47]
	v_add_f64 v[97:98], v[64:65], v[68:69]
	v_add_f64 v[99:100], v[60:61], v[72:73]
	v_add_f64 v[101:102], v[66:67], v[70:71]
	v_add_f64 v[103:104], v[62:63], v[74:75]
	v_add_f64 v[129:130], v[76:77], v[60:61]
	v_add_f64 v[135:136], v[78:79], v[62:63]
	v_add_f64 v[131:132], v[62:63], -v[74:75]
	v_add_f64 v[133:134], v[66:67], -v[70:71]
	;; [unrolled: 1-line block ×4, first 2 shown]
	v_fma_f64 v[119:120], v[81:82], s[8:9], v[87:88]
	v_fma_f64 v[121:122], v[85:86], s[8:9], v[89:90]
	;; [unrolled: 1-line block ×8, first 2 shown]
	v_add_f64 v[40:41], v[40:41], v[48:49]
	v_add_f64 v[42:43], v[42:43], v[50:51]
	v_fma_f64 v[56:57], v[97:98], -0.5, v[76:77]
	v_fma_f64 v[76:77], v[99:100], -0.5, v[76:77]
	;; [unrolled: 1-line block ×4, first 2 shown]
	v_add_f64 v[99:100], v[105:106], v[107:108]
	v_add_f64 v[103:104], v[113:114], v[115:116]
	;; [unrolled: 1-line block ×3, first 2 shown]
	v_add_f64 v[115:116], v[62:63], -v[66:67]
	v_add_f64 v[62:63], v[66:67], -v[62:63]
	v_add_f64 v[66:67], v[135:136], v[66:67]
	v_add_f64 v[111:112], v[72:73], -v[68:69]
	v_add_f64 v[113:114], v[68:69], -v[72:73]
	v_fma_f64 v[105:106], v[83:84], s[14:15], v[119:120]
	v_fma_f64 v[107:108], v[93:94], s[12:13], v[121:122]
	;; [unrolled: 1-line block ×6, first 2 shown]
	v_add_f64 v[87:88], v[117:118], v[125:126]
	v_fma_f64 v[91:92], v[85:86], s[14:15], v[127:128]
	v_add_f64 v[93:94], v[60:61], -v[64:65]
	v_add_f64 v[60:61], v[64:65], -v[60:61]
	v_add_f64 v[64:65], v[129:130], v[64:65]
	v_add_f64 v[117:118], v[74:75], -v[70:71]
	v_add_f64 v[119:120], v[70:71], -v[74:75]
	v_fma_f64 v[85:86], v[85:86], s[12:13], v[95:96]
	v_add_f64 v[52:53], v[40:41], v[52:53]
	v_and_b32_e32 v40, 0xff, v80
	v_add_f64 v[54:55], v[42:43], v[54:55]
	v_fma_f64 v[44:45], v[131:132], s[8:9], v[56:57]
	v_fma_f64 v[46:47], v[131:132], s[2:3], v[56:57]
	;; [unrolled: 1-line block ×8, first 2 shown]
	v_add_f64 v[66:67], v[66:67], v[70:71]
	v_fma_f64 v[95:96], v[99:100], s[16:17], v[105:106]
	v_fma_f64 v[105:106], v[103:104], s[16:17], v[107:108]
	;; [unrolled: 1-line block ×7, first 2 shown]
	v_add_f64 v[93:94], v[93:94], v[111:112]
	v_add_f64 v[60:61], v[60:61], v[113:114]
	;; [unrolled: 1-line block ×5, first 2 shown]
	v_fma_f64 v[44:45], v[133:134], s[14:15], v[44:45]
	v_fma_f64 v[46:47], v[133:134], s[12:13], v[46:47]
	;; [unrolled: 1-line block ×9, first 2 shown]
	v_add_f64 v[66:67], v[66:67], v[74:75]
	v_mul_f64 v[78:79], v[95:96], s[18:19]
	v_mul_f64 v[85:86], v[105:106], s[8:9]
	;; [unrolled: 1-line block ×8, first 2 shown]
	v_add_f64 v[64:65], v[64:65], v[72:73]
	v_fma_f64 v[72:73], v[93:94], s[16:17], v[44:45]
	v_fma_f64 v[74:75], v[93:94], s[16:17], v[46:47]
	;; [unrolled: 1-line block ×8, first 2 shown]
	v_add_f64 v[42:43], v[66:67], v[54:55]
	v_add_f64 v[46:47], v[66:67], -v[54:55]
	v_fma_f64 v[68:69], v[76:77], s[14:15], v[78:79]
	v_fma_f64 v[70:71], v[81:82], s[16:17], v[85:86]
	;; [unrolled: 1-line block ×3, first 2 shown]
	v_fma_f64 v[78:79], v[89:90], s[8:9], -v[87:88]
	v_fma_f64 v[87:88], v[105:106], s[16:17], v[101:102]
	v_fma_f64 v[89:90], v[107:108], s[2:3], -v[103:104]
	v_fma_f64 v[81:82], v[91:92], s[14:15], -v[97:98]
	;; [unrolled: 1-line block ×3, first 2 shown]
	v_mul_lo_u16 v91, 0xcd, v40
	v_add_f64 v[40:41], v[64:65], v[52:53]
	v_add_f64 v[44:45], v[64:65], -v[52:53]
	s_delay_alu instid0(VALU_DEP_3)
	v_lshrrev_b16 v177, 11, v91
	v_add_f64 v[48:49], v[72:73], v[68:69]
	v_add_f64 v[52:53], v[93:94], v[70:71]
	;; [unrolled: 1-line block ×8, first 2 shown]
	v_add_f64 v[64:65], v[72:73], -v[68:69]
	v_add_f64 v[66:67], v[113:114], -v[85:86]
	;; [unrolled: 1-line block ×8, first 2 shown]
	v_mul_lo_u16 v81, v177, 10
	v_mul_lo_u16 v82, v80, 10
	s_delay_alu instid0(VALU_DEP_2) | instskip(NEXT) | instid1(VALU_DEP_2)
	v_sub_nc_u16 v81, v80, v81
	v_and_b32_e32 v82, 0xffff, v82
	s_delay_alu instid0(VALU_DEP_2) | instskip(NEXT) | instid1(VALU_DEP_2)
	v_and_b32_e32 v178, 0xff, v81
	v_lshl_add_u32 v204, v82, 4, v200
	ds_store_b128 v204, v[40:43]
	ds_store_b128 v204, v[48:51] offset:16
	ds_store_b128 v204, v[52:55] offset:32
	;; [unrolled: 1-line block ×9, first 2 shown]
	v_mad_u64_u32 v[81:82], null, 0x90, v178, s[10:11]
	s_waitcnt lgkmcnt(0)
	s_barrier
	buffer_gl0_inv
	s_clause 0x8
	global_load_b128 v[72:75], v[81:82], off offset:32
	global_load_b128 v[48:51], v[81:82], off offset:64
	;; [unrolled: 1-line block ×4, first 2 shown]
	global_load_b128 v[40:43], v[81:82], off
	global_load_b128 v[64:67], v[81:82], off offset:16
	global_load_b128 v[60:63], v[81:82], off offset:48
	;; [unrolled: 1-line block ×4, first 2 shown]
	ds_load_b128 v[76:79], v199 offset:4320
	ds_load_b128 v[81:84], v199 offset:7200
	ds_load_b128 v[85:88], v199 offset:10080
	ds_load_b128 v[89:92], v199 offset:12960
	ds_load_b128 v[93:96], v199 offset:1440
	ds_load_b128 v[97:100], v199 offset:2880
	s_waitcnt vmcnt(8) lgkmcnt(5)
	v_mul_f64 v[101:102], v[78:79], v[74:75]
	v_mul_f64 v[103:104], v[76:77], v[74:75]
	s_waitcnt vmcnt(7) lgkmcnt(4)
	v_mul_f64 v[105:106], v[83:84], v[50:51]
	v_mul_f64 v[107:108], v[81:82], v[50:51]
	s_waitcnt vmcnt(6) lgkmcnt(3)
	v_mul_f64 v[109:110], v[85:86], v[46:47]
	s_waitcnt vmcnt(5) lgkmcnt(2)
	v_mul_f64 v[111:112], v[89:90], v[70:71]
	v_mul_f64 v[113:114], v[91:92], v[70:71]
	;; [unrolled: 1-line block ×3, first 2 shown]
	s_waitcnt vmcnt(4) lgkmcnt(1)
	v_mul_f64 v[117:118], v[95:96], v[42:43]
	v_mul_f64 v[119:120], v[93:94], v[42:43]
	v_fma_f64 v[101:102], v[76:77], v[72:73], -v[101:102]
	v_fma_f64 v[103:104], v[78:79], v[72:73], v[103:104]
	v_fma_f64 v[105:106], v[81:82], v[48:49], -v[105:106]
	v_fma_f64 v[107:108], v[83:84], v[48:49], v[107:108]
	v_fma_f64 v[109:110], v[87:88], v[44:45], v[109:110]
	;; [unrolled: 1-line block ×3, first 2 shown]
	v_fma_f64 v[89:90], v[89:90], v[68:69], -v[113:114]
	v_fma_f64 v[111:112], v[85:86], v[44:45], -v[115:116]
	ds_load_b128 v[76:79], v199 offset:5760
	ds_load_b128 v[81:84], v199 offset:8640
	;; [unrolled: 1-line block ×3, first 2 shown]
	s_waitcnt vmcnt(3) lgkmcnt(3)
	v_mul_f64 v[113:114], v[99:100], v[66:67]
	v_mul_f64 v[115:116], v[97:98], v[66:67]
	v_fma_f64 v[93:94], v[93:94], v[40:41], -v[117:118]
	v_fma_f64 v[95:96], v[95:96], v[40:41], v[119:120]
	s_waitcnt vmcnt(2) lgkmcnt(2)
	v_mul_f64 v[121:122], v[78:79], v[62:63]
	v_mul_f64 v[123:124], v[76:77], v[62:63]
	s_waitcnt vmcnt(1) lgkmcnt(1)
	v_mul_f64 v[125:126], v[83:84], v[58:59]
	s_waitcnt vmcnt(0) lgkmcnt(0)
	v_mul_f64 v[127:128], v[87:88], v[54:55]
	v_mul_f64 v[129:130], v[81:82], v[58:59]
	;; [unrolled: 1-line block ×3, first 2 shown]
	v_add_f64 v[141:142], v[101:102], -v[105:106]
	v_add_f64 v[145:146], v[105:106], -v[101:102]
	v_add_f64 v[117:118], v[107:108], v[109:110]
	v_add_f64 v[119:120], v[103:104], v[91:92]
	;; [unrolled: 1-line block ×4, first 2 shown]
	v_add_f64 v[143:144], v[89:90], -v[111:112]
	v_fma_f64 v[97:98], v[97:98], v[64:65], -v[113:114]
	v_fma_f64 v[99:100], v[99:100], v[64:65], v[115:116]
	v_add_f64 v[147:148], v[111:112], -v[89:90]
	v_add_f64 v[149:150], v[103:104], -v[107:108]
	;; [unrolled: 1-line block ×5, first 2 shown]
	v_fma_f64 v[113:114], v[76:77], v[60:61], -v[121:122]
	v_fma_f64 v[115:116], v[78:79], v[60:61], v[123:124]
	v_fma_f64 v[81:82], v[81:82], v[56:57], -v[125:126]
	v_fma_f64 v[85:86], v[85:86], v[52:53], -v[127:128]
	v_fma_f64 v[83:84], v[83:84], v[56:57], v[129:130]
	v_fma_f64 v[87:88], v[87:88], v[52:53], v[131:132]
	v_add_f64 v[121:122], v[103:104], -v[91:92]
	v_add_f64 v[123:124], v[107:108], -v[109:110]
	;; [unrolled: 1-line block ×4, first 2 shown]
	ds_load_b128 v[76:79], v199
	s_waitcnt lgkmcnt(0)
	s_barrier
	buffer_gl0_inv
	v_fma_f64 v[117:118], v[117:118], -0.5, v[95:96]
	v_fma_f64 v[119:120], v[119:120], -0.5, v[95:96]
	;; [unrolled: 1-line block ×4, first 2 shown]
	v_add_f64 v[93:94], v[93:94], v[101:102]
	v_add_f64 v[95:96], v[95:96], v[103:104]
	;; [unrolled: 1-line block ×8, first 2 shown]
	v_add_f64 v[167:168], v[99:100], -v[87:88]
	v_add_f64 v[173:174], v[97:98], -v[85:86]
	;; [unrolled: 1-line block ×4, first 2 shown]
	v_fma_f64 v[157:158], v[125:126], s[2:3], v[117:118]
	v_fma_f64 v[159:160], v[127:128], s[8:9], v[119:120]
	v_fma_f64 v[161:162], v[123:124], s[8:9], v[129:130]
	v_fma_f64 v[163:164], v[121:122], s[2:3], v[131:132]
	v_fma_f64 v[131:132], v[121:122], s[8:9], v[131:132]
	v_fma_f64 v[129:130], v[123:124], s[2:3], v[129:130]
	v_fma_f64 v[119:120], v[127:128], s[2:3], v[119:120]
	v_fma_f64 v[117:118], v[125:126], s[8:9], v[117:118]
	v_add_f64 v[93:94], v[93:94], v[105:106]
	v_add_f64 v[95:96], v[95:96], v[107:108]
	v_fma_f64 v[101:102], v[133:134], -0.5, v[76:77]
	v_fma_f64 v[76:77], v[135:136], -0.5, v[76:77]
	v_fma_f64 v[103:104], v[137:138], -0.5, v[78:79]
	v_fma_f64 v[78:79], v[139:140], -0.5, v[78:79]
	v_add_f64 v[133:134], v[141:142], v[143:144]
	v_add_f64 v[135:136], v[145:146], v[147:148]
	;; [unrolled: 1-line block ×4, first 2 shown]
	v_add_f64 v[149:150], v[87:88], -v[83:84]
	v_add_f64 v[151:152], v[83:84], -v[87:88]
	v_fma_f64 v[141:142], v[127:128], s[12:13], v[157:158]
	v_fma_f64 v[143:144], v[125:126], s[12:13], v[159:160]
	;; [unrolled: 1-line block ×8, first 2 shown]
	v_add_f64 v[125:126], v[97:98], -v[113:114]
	v_add_f64 v[97:98], v[113:114], -v[97:98]
	;; [unrolled: 1-line block ×4, first 2 shown]
	v_add_f64 v[113:114], v[165:166], v[113:114]
	v_add_f64 v[115:116], v[171:172], v[115:116]
	v_add_f64 v[127:128], v[85:86], -v[81:82]
	v_add_f64 v[129:130], v[81:82], -v[85:86]
	v_add_f64 v[93:94], v[93:94], v[111:112]
	v_add_f64 v[95:96], v[95:96], v[109:110]
	v_fma_f64 v[105:106], v[167:168], s[8:9], v[101:102]
	v_fma_f64 v[107:108], v[169:170], s[2:3], v[76:77]
	;; [unrolled: 1-line block ×16, first 2 shown]
	v_add_f64 v[99:100], v[99:100], v[151:152]
	v_add_f64 v[81:82], v[113:114], v[81:82]
	;; [unrolled: 1-line block ×8, first 2 shown]
	v_fma_f64 v[105:106], v[169:170], s[14:15], v[105:106]
	v_fma_f64 v[107:108], v[167:168], s[14:15], v[107:108]
	;; [unrolled: 1-line block ×8, first 2 shown]
                                        ; implicit-def: $vgpr152_vgpr153
	v_mul_f64 v[113:114], v[141:142], s[14:15]
	v_mul_f64 v[115:116], v[143:144], s[8:9]
	;; [unrolled: 1-line block ×8, first 2 shown]
	v_add_f64 v[85:86], v[81:82], v[85:86]
	v_add_f64 v[87:88], v[83:84], v[87:88]
	v_fma_f64 v[105:106], v[125:126], s[16:17], v[105:106]
	v_fma_f64 v[107:108], v[97:98], s[16:17], v[107:108]
	;; [unrolled: 1-line block ×10, first 2 shown]
	v_fma_f64 v[115:116], v[119:120], s[8:9], -v[129:130]
	v_fma_f64 v[117:118], v[117:118], s[14:15], -v[131:132]
	v_fma_f64 v[119:120], v[141:142], s[18:19], v[133:134]
	v_fma_f64 v[121:122], v[143:144], s[16:17], v[135:136]
	v_fma_f64 v[123:124], v[145:146], s[2:3], -v[137:138]
	v_fma_f64 v[129:130], v[147:148], s[12:13], -v[139:140]
	s_load_b64 s[2:3], s[0:1], 0x38
	s_mov_b32 s0, 0
	s_delay_alu instid0(SALU_CYCLE_1)
	v_mov_b32_e32 v190, s0
	v_add_f64 v[81:82], v[85:86], v[89:90]
	v_add_f64 v[83:84], v[87:88], v[91:92]
	v_add_f64 v[85:86], v[85:86], -v[89:90]
	v_add_f64 v[87:88], v[87:88], -v[91:92]
	v_add_f64 v[89:90], v[105:106], v[109:110]
	v_add_f64 v[93:94], v[107:108], v[113:114]
	;; [unrolled: 1-line block ×8, first 2 shown]
	v_add_f64 v[105:106], v[105:106], -v[109:110]
	v_add_f64 v[109:110], v[107:108], -v[113:114]
	;; [unrolled: 1-line block ×8, first 2 shown]
	v_and_b32_e32 v117, 0xffff, v177
                                        ; implicit-def: $vgpr148_vgpr149
	s_delay_alu instid0(VALU_DEP_1) | instskip(NEXT) | instid1(VALU_DEP_1)
	v_mul_u32_u24_e32 v117, 0x64, v117
	v_add_nc_u32_e32 v117, v117, v178
	s_delay_alu instid0(VALU_DEP_1)
	v_lshl_add_u32 v203, v117, 4, v200
	ds_store_b128 v203, v[81:84]
	ds_store_b128 v203, v[89:92] offset:160
	ds_store_b128 v203, v[93:96] offset:320
	;; [unrolled: 1-line block ×9, first 2 shown]
	s_waitcnt lgkmcnt(0)
	s_barrier
	buffer_gl0_inv
	ds_load_b128 v[120:123], v199
	ds_load_b128 v[92:95], v199 offset:1440
	ds_load_b128 v[136:139], v199 offset:9600
	;; [unrolled: 1-line block ×8, first 2 shown]
	s_and_saveexec_b32 s0, vcc_lo
	s_cbranch_execz .LBB0_3
; %bb.2:
	ds_load_b128 v[76:79], v199 offset:4320
	ds_load_b128 v[148:151], v199 offset:9120
	;; [unrolled: 1-line block ×3, first 2 shown]
.LBB0_3:
	s_or_b32 exec_lo, exec_lo, s0
	v_add_co_u32 v193, s0, 0xb4, v189
	s_delay_alu instid0(VALU_DEP_1) | instskip(SKIP_1) | instid1(VALU_DEP_3)
	v_add_co_ci_u32_e64 v194, null, 0, 0, s0
	v_add_co_u32 v207, s0, 0x10e, v189
	v_lshrrev_b16 v80, 2, v193
	v_add_co_ci_u32_e64 v208, null, 0, 0, s0
	s_delay_alu instid0(VALU_DEP_3) | instskip(SKIP_1) | instid1(VALU_DEP_4)
	v_lshrrev_b16 v81, 2, v207
	v_add_co_u32 v195, s0, 0x5a, v189
	v_and_b32_e32 v80, 0xffff, v80
	v_add_co_ci_u32_e64 v196, null, 0, 0, s0
	s_delay_alu instid0(VALU_DEP_4) | instskip(SKIP_1) | instid1(VALU_DEP_4)
	v_and_b32_e32 v81, 0xffff, v81
	v_add_co_u32 v82, s0, v189, -10
	v_mul_u32_u24_e32 v80, 0x147b, v80
	v_add_co_ci_u32_e64 v83, null, 0, -1, s0
	v_cmp_gt_u16_e64 s0, 10, v189
	s_mov_b32 s9, 0xbfebb67a
	s_delay_alu instid0(VALU_DEP_3) | instskip(SKIP_1) | instid1(VALU_DEP_3)
	v_lshrrev_b32_e32 v187, 17, v80
	v_mul_u32_u24_e32 v80, 0x147b, v81
	v_cndmask_b32_e64 v165, v83, v196, s0
	v_cndmask_b32_e64 v164, v82, v195, s0
	s_delay_alu instid0(VALU_DEP_4) | instskip(NEXT) | instid1(VALU_DEP_4)
	v_mul_lo_u16 v84, 0x64, v187
	v_lshrrev_b32_e32 v85, 17, v80
	v_lshlrev_b64 v[80:81], 5, v[189:190]
	s_delay_alu instid0(VALU_DEP_4) | instskip(NEXT) | instid1(VALU_DEP_4)
	v_lshlrev_b64 v[82:83], 5, v[164:165]
	v_sub_nc_u16 v190, v193, v84
	s_delay_alu instid0(VALU_DEP_4) | instskip(NEXT) | instid1(VALU_DEP_4)
	v_mul_lo_u16 v84, 0x64, v85
	v_add_co_u32 v197, s0, s10, v80
	s_delay_alu instid0(VALU_DEP_3) | instskip(NEXT) | instid1(VALU_DEP_3)
	v_lshlrev_b16 v80, 5, v190
	v_sub_nc_u16 v213, v207, v84
	v_add_co_ci_u32_e64 v198, s0, s11, v81, s0
	v_add_co_u32 v88, s0, s10, v82
	s_delay_alu instid0(VALU_DEP_3)
	v_lshlrev_b16 v100, 5, v213
	v_and_b32_e32 v101, 0xffff, v80
	v_add_co_ci_u32_e64 v89, s0, s11, v83, s0
	s_clause 0x1
	global_load_b128 v[84:87], v[197:198], off offset:1456
	global_load_b128 v[96:99], v[197:198], off offset:1440
	v_and_b32_e32 v102, 0xffff, v100
	v_add_co_u32 v100, s0, s10, v101
	s_delay_alu instid0(VALU_DEP_1) | instskip(NEXT) | instid1(VALU_DEP_3)
	v_add_co_ci_u32_e64 v101, null, s11, 0, s0
	v_add_co_u32 v108, s0, s10, v102
	s_delay_alu instid0(VALU_DEP_1)
	v_add_co_ci_u32_e64 v109, null, s11, 0, s0
	s_clause 0x5
	global_load_b128 v[80:83], v[88:89], off offset:1456
	global_load_b128 v[88:91], v[88:89], off offset:1440
	;; [unrolled: 1-line block ×6, first 2 shown]
	s_mov_b32 s0, 0xe8584caa
	s_mov_b32 s1, 0x3febb67a
	;; [unrolled: 1-line block ×3, first 2 shown]
	s_waitcnt vmcnt(0) lgkmcnt(0)
	s_barrier
	buffer_gl0_inv
	v_mul_f64 v[158:159], v[138:139], v[86:87]
	v_mul_f64 v[156:157], v[146:147], v[98:99]
	;; [unrolled: 1-line block ×16, first 2 shown]
	v_fma_f64 v[136:137], v[136:137], v[84:85], -v[158:159]
	v_fma_f64 v[144:145], v[144:145], v[96:97], -v[156:157]
	v_fma_f64 v[146:147], v[146:147], v[96:97], v[160:161]
	v_fma_f64 v[138:139], v[138:139], v[84:85], v[162:163]
	v_fma_f64 v[128:129], v[128:129], v[104:105], -v[173:174]
	v_fma_f64 v[124:125], v[124:125], v[80:81], -v[167:168]
	;; [unrolled: 1-line block ×3, first 2 shown]
	v_fma_f64 v[142:143], v[142:143], v[88:89], v[169:170]
	v_fma_f64 v[126:127], v[126:127], v[80:81], v[171:172]
	v_fma_f64 v[148:149], v[148:149], v[112:113], -v[181:182]
	v_fma_f64 v[152:153], v[152:153], v[108:109], -v[183:184]
	v_fma_f64 v[150:151], v[150:151], v[112:113], v[185:186]
	v_fma_f64 v[154:155], v[154:155], v[108:109], v[205:206]
	v_fma_f64 v[132:133], v[132:133], v[100:101], -v[175:176]
	v_fma_f64 v[130:131], v[130:131], v[104:105], v[177:178]
	v_fma_f64 v[134:135], v[134:135], v[100:101], v[179:180]
	v_add_f64 v[156:157], v[144:145], v[136:137]
	v_add_f64 v[173:174], v[120:121], v[144:145]
	v_add_f64 v[158:159], v[146:147], v[138:139]
	v_add_f64 v[175:176], v[146:147], -v[138:139]
	v_add_f64 v[146:147], v[122:123], v[146:147]
	v_add_f64 v[144:145], v[144:145], -v[136:137]
	v_add_f64 v[160:161], v[140:141], v[124:125]
	v_add_f64 v[177:178], v[92:93], v[140:141]
	;; [unrolled: 1-line block ×5, first 2 shown]
	v_add_f64 v[142:143], v[142:143], -v[126:127]
	v_add_f64 v[171:172], v[150:151], v[154:155]
	v_add_f64 v[165:166], v[128:129], v[132:133]
	;; [unrolled: 1-line block ×5, first 2 shown]
	v_add_f64 v[140:141], v[140:141], -v[124:125]
	v_add_f64 v[209:210], v[150:151], -v[154:155]
	;; [unrolled: 1-line block ×5, first 2 shown]
	v_fma_f64 v[120:121], v[156:157], -0.5, v[120:121]
	v_add_f64 v[156:157], v[116:117], v[128:129]
	v_fma_f64 v[122:123], v[158:159], -0.5, v[122:123]
	v_add_f64 v[158:159], v[118:119], v[130:131]
	;; [unrolled: 2-line block ×5, first 2 shown]
	v_fma_f64 v[171:172], v[171:172], -0.5, v[78:79]
	v_fma_f64 v[165:166], v[165:166], -0.5, v[116:117]
	v_add_f64 v[78:79], v[146:147], v[138:139]
	v_fma_f64 v[167:168], v[167:168], -0.5, v[118:119]
	v_add_f64 v[148:149], v[181:182], v[152:153]
	v_add_f64 v[150:151], v[183:184], v[154:155]
	v_fma_f64 v[116:117], v[175:176], s[0:1], v[120:121]
	v_add_f64 v[124:125], v[156:157], v[132:133]
	v_fma_f64 v[118:119], v[144:145], s[8:9], v[122:123]
	;; [unrolled: 2-line block ×3, first 2 shown]
	v_fma_f64 v[122:123], v[144:145], s[0:1], v[122:123]
	v_mad_u16 v145, 0x12c, v187, v190
	v_and_b32_e32 v190, 0xffff, v213
	v_fma_f64 v[128:129], v[142:143], s[0:1], v[160:161]
	v_fma_f64 v[132:133], v[142:143], s[8:9], v[160:161]
	;; [unrolled: 1-line block ×12, first 2 shown]
	v_cmp_lt_u16_e64 s0, 9, v189
	v_and_b32_e32 v145, 0xffff, v145
	s_delay_alu instid0(VALU_DEP_2) | instskip(NEXT) | instid1(VALU_DEP_2)
	v_cndmask_b32_e64 v144, 0, 0x12c, s0
	v_lshl_add_u32 v206, v145, 4, v200
	s_delay_alu instid0(VALU_DEP_2) | instskip(NEXT) | instid1(VALU_DEP_1)
	v_add_nc_u32_e32 v144, v164, v144
	v_lshl_add_u32 v205, v144, 4, v200
	ds_store_b128 v199, v[76:79]
	ds_store_b128 v199, v[116:119] offset:1600
	ds_store_b128 v199, v[120:123] offset:3200
	ds_store_b128 v205, v[92:95]
	ds_store_b128 v205, v[128:131] offset:1600
	ds_store_b128 v205, v[132:135] offset:3200
	;; [unrolled: 3-line block ×3, first 2 shown]
	s_and_saveexec_b32 s0, vcc_lo
	s_cbranch_execz .LBB0_5
; %bb.4:
	v_lshl_add_u32 v76, v190, 4, v200
	ds_store_b128 v76, v[148:151] offset:9600
	ds_store_b128 v76, v[156:159] offset:11200
	;; [unrolled: 1-line block ×3, first 2 shown]
.LBB0_5:
	s_or_b32 exec_lo, exec_lo, s0
	s_waitcnt lgkmcnt(0)
	s_barrier
	buffer_gl0_inv
	ds_load_b128 v[144:147], v199
	ds_load_b128 v[140:143], v199 offset:1440
	ds_load_b128 v[176:179], v199 offset:9600
	;; [unrolled: 1-line block ×8, first 2 shown]
	s_and_saveexec_b32 s0, vcc_lo
	s_cbranch_execz .LBB0_7
; %bb.6:
	ds_load_b128 v[148:151], v199 offset:4320
	ds_load_b128 v[156:159], v199 offset:9120
	;; [unrolled: 1-line block ×3, first 2 shown]
.LBB0_7:
	s_or_b32 exec_lo, exec_lo, s0
	v_lshlrev_b64 v[76:77], 5, v[195:196]
	v_add_co_u32 v78, s0, 0x1220, v197
	s_delay_alu instid0(VALU_DEP_1) | instskip(NEXT) | instid1(VALU_DEP_3)
	v_add_co_ci_u32_e64 v79, s0, 0, v198, s0
	v_add_co_u32 v94, s0, s10, v76
	s_delay_alu instid0(VALU_DEP_1) | instskip(SKIP_1) | instid1(VALU_DEP_1)
	v_add_co_ci_u32_e64 v95, s0, s11, v77, s0
	v_add_co_u32 v76, s0, 0x1000, v197
	v_add_co_ci_u32_e64 v77, s0, 0, v198, s0
	s_delay_alu instid0(VALU_DEP_4) | instskip(NEXT) | instid1(VALU_DEP_1)
	v_add_co_u32 v92, s0, 0x1220, v94
	v_add_co_ci_u32_e64 v93, s0, 0, v95, s0
	v_add_co_u32 v94, s0, 0x1000, v94
	s_delay_alu instid0(VALU_DEP_1) | instskip(SKIP_1) | instid1(VALU_DEP_1)
	v_add_co_ci_u32_e64 v95, s0, 0, v95, s0
	v_add_co_u32 v132, s0, 0xffffffe2, v189
	v_add_co_ci_u32_e64 v133, null, 0, -1, s0
	s_clause 0x1
	global_load_b128 v[124:127], v[76:77], off offset:544
	global_load_b128 v[128:131], v[78:79], off offset:16
	v_lshlrev_b64 v[76:77], 5, v[193:194]
	v_dual_cndmask_b32 v78, v132, v207 :: v_dual_cndmask_b32 v79, v133, v208
	s_clause 0x1
	global_load_b128 v[116:119], v[94:95], off offset:544
	global_load_b128 v[120:123], v[92:93], off offset:16
	v_add_co_u32 v92, s0, s10, v76
	s_delay_alu instid0(VALU_DEP_1) | instskip(SKIP_1) | instid1(VALU_DEP_3)
	v_add_co_ci_u32_e64 v93, s0, s11, v77, s0
	v_lshlrev_b64 v[76:77], 5, v[78:79]
	v_add_co_u32 v78, s0, 0x1220, v92
	s_delay_alu instid0(VALU_DEP_1) | instskip(NEXT) | instid1(VALU_DEP_3)
	v_add_co_ci_u32_e64 v79, s0, 0, v93, s0
	v_add_co_u32 v94, s0, s10, v76
	s_delay_alu instid0(VALU_DEP_1) | instskip(SKIP_1) | instid1(VALU_DEP_1)
	v_add_co_ci_u32_e64 v95, s0, s11, v77, s0
	v_add_co_u32 v76, s0, 0x1000, v92
	v_add_co_ci_u32_e64 v77, s0, 0, v93, s0
	s_delay_alu instid0(VALU_DEP_4) | instskip(NEXT) | instid1(VALU_DEP_1)
	v_add_co_u32 v92, s0, 0x1220, v94
	v_add_co_ci_u32_e64 v93, s0, 0, v95, s0
	v_add_co_u32 v94, s0, 0x1000, v94
	s_delay_alu instid0(VALU_DEP_1)
	v_add_co_ci_u32_e64 v95, s0, 0, v95, s0
	s_clause 0x3
	global_load_b128 v[132:135], v[76:77], off offset:544
	global_load_b128 v[136:139], v[78:79], off offset:16
	;; [unrolled: 1-line block ×4, first 2 shown]
	s_mov_b32 s0, 0xe8584caa
	s_mov_b32 s1, 0x3febb67a
	;; [unrolled: 1-line block ×3, first 2 shown]
	s_waitcnt vmcnt(7) lgkmcnt(4)
	v_mul_f64 v[193:194], v[186:187], v[126:127]
	s_waitcnt vmcnt(6)
	v_mul_f64 v[195:196], v[178:179], v[130:131]
	v_mul_f64 v[197:198], v[184:185], v[126:127]
	;; [unrolled: 1-line block ×3, first 2 shown]
	s_waitcnt vmcnt(5) lgkmcnt(2)
	v_mul_f64 v[209:210], v[182:183], v[118:119]
	s_waitcnt vmcnt(4)
	v_mul_f64 v[211:212], v[166:167], v[122:123]
	v_mul_f64 v[213:214], v[180:181], v[118:119]
	;; [unrolled: 1-line block ×3, first 2 shown]
	s_waitcnt vmcnt(3) lgkmcnt(1)
	v_mul_f64 v[217:218], v[170:171], v[134:135]
	s_waitcnt vmcnt(2) lgkmcnt(0)
	v_mul_f64 v[219:220], v[174:175], v[138:139]
	s_waitcnt vmcnt(1)
	v_mul_f64 v[225:226], v[158:159], v[78:79]
	s_waitcnt vmcnt(0)
	v_mul_f64 v[227:228], v[162:163], v[94:95]
	v_mul_f64 v[229:230], v[156:157], v[78:79]
	;; [unrolled: 1-line block ×5, first 2 shown]
	v_fma_f64 v[184:185], v[184:185], v[124:125], -v[193:194]
	v_fma_f64 v[176:177], v[176:177], v[128:129], -v[195:196]
	v_fma_f64 v[186:187], v[186:187], v[124:125], v[197:198]
	v_fma_f64 v[178:179], v[178:179], v[128:129], v[207:208]
	v_fma_f64 v[180:181], v[180:181], v[116:117], -v[209:210]
	v_fma_f64 v[193:194], v[164:165], v[120:121], -v[211:212]
	v_fma_f64 v[182:183], v[182:183], v[116:117], v[213:214]
	v_fma_f64 v[195:196], v[166:167], v[120:121], v[215:216]
	v_fma_f64 v[166:167], v[168:169], v[132:133], -v[217:218]
	v_fma_f64 v[197:198], v[172:173], v[136:137], -v[219:220]
	;; [unrolled: 1-line block ×4, first 2 shown]
	v_fma_f64 v[160:161], v[158:159], v[76:77], v[229:230]
	v_fma_f64 v[158:159], v[162:163], v[92:93], v[231:232]
	;; [unrolled: 1-line block ×4, first 2 shown]
	v_add_f64 v[217:218], v[144:145], v[184:185]
	v_add_f64 v[162:163], v[184:185], v[176:177]
	;; [unrolled: 1-line block ×3, first 2 shown]
	v_add_f64 v[219:220], v[186:187], -v[178:179]
	v_add_f64 v[172:173], v[180:181], v[193:194]
	v_add_f64 v[186:187], v[146:147], v[186:187]
	;; [unrolled: 1-line block ×5, first 2 shown]
	v_add_f64 v[229:230], v[182:183], -v[195:196]
	v_add_f64 v[231:232], v[180:181], -v[193:194]
	v_add_f64 v[225:226], v[152:153], v[166:167]
	v_add_f64 v[209:210], v[166:167], v[197:198]
	v_add_f64 v[235:236], v[166:167], -v[197:198]
	v_add_f64 v[213:214], v[164:165], v[156:157]
	v_add_f64 v[241:242], v[164:165], -v[156:157]
	v_add_f64 v[215:216], v[160:161], v[158:159]
	v_add_f64 v[227:228], v[154:155], v[168:169]
	;; [unrolled: 1-line block ×3, first 2 shown]
	v_add_f64 v[237:238], v[160:161], -v[158:159]
	v_fma_f64 v[144:145], v[162:163], -0.5, v[144:145]
	v_add_f64 v[162:163], v[184:185], -v[176:177]
	v_fma_f64 v[146:147], v[170:171], -0.5, v[146:147]
	v_add_f64 v[233:234], v[168:169], -v[207:208]
	v_fma_f64 v[140:141], v[172:173], -0.5, v[140:141]
	v_add_f64 v[166:167], v[217:218], v[176:177]
	v_fma_f64 v[142:143], v[174:175], -0.5, v[142:143]
	v_add_f64 v[168:169], v[186:187], v[178:179]
	v_add_f64 v[170:171], v[221:222], v[193:194]
	;; [unrolled: 1-line block ×4, first 2 shown]
	v_fma_f64 v[152:153], v[209:210], -0.5, v[152:153]
	v_fma_f64 v[239:240], v[213:214], -0.5, v[148:149]
	;; [unrolled: 1-line block ×3, first 2 shown]
	v_add_f64 v[176:177], v[227:228], v[207:208]
	v_fma_f64 v[154:155], v[211:212], -0.5, v[154:155]
	v_fma_f64 v[178:179], v[219:220], s[0:1], v[144:145]
	v_fma_f64 v[182:183], v[219:220], s[8:9], v[144:145]
	;; [unrolled: 1-line block ×16, first 2 shown]
	v_lshl_add_u32 v152, v189, 4, v200
	ds_store_b128 v152, v[178:181] offset:4800
	ds_store_b128 v152, v[182:185] offset:9600
	ds_store_b128 v199, v[166:169]
	ds_store_b128 v199, v[170:173] offset:1440
	ds_store_b128 v152, v[193:196] offset:6240
	;; [unrolled: 1-line block ×6, first 2 shown]
	s_and_saveexec_b32 s0, vcc_lo
	s_cbranch_execz .LBB0_9
; %bb.8:
	v_add_f64 v[150:151], v[150:151], v[160:161]
	v_add_f64 v[148:149], v[148:149], v[164:165]
	s_delay_alu instid0(VALU_DEP_2) | instskip(NEXT) | instid1(VALU_DEP_2)
	v_add_f64 v[150:151], v[150:151], v[158:159]
	v_add_f64 v[148:149], v[148:149], v[156:157]
	ds_store_b128 v199, v[148:151] offset:4320
	ds_store_b128 v152, v[140:143] offset:9120
	;; [unrolled: 1-line block ×3, first 2 shown]
.LBB0_9:
	s_or_b32 exec_lo, exec_lo, s0
	v_add_co_u32 v165, s0, 0x3840, v201
	s_delay_alu instid0(VALU_DEP_1)
	v_add_co_ci_u32_e64 v166, s0, 0, v202, s0
	s_waitcnt lgkmcnt(0)
	s_barrier
	buffer_gl0_inv
	s_clause 0x1
	global_load_b128 v[148:151], v[191:192], off offset:2112
	global_load_b128 v[153:156], v[165:166], off offset:1440
	ds_load_b128 v[157:160], v199
	ds_load_b128 v[161:164], v199 offset:1440
	v_add_co_u32 v173, s0, 0x4000, v201
	s_delay_alu instid0(VALU_DEP_1) | instskip(SKIP_1) | instid1(VALU_DEP_1)
	v_add_co_ci_u32_e64 v174, s0, 0, v202, s0
	v_add_co_u32 v181, s0, 0x5000, v201
	v_add_co_ci_u32_e64 v182, s0, 0, v202, s0
	s_mov_b32 s12, 0x134454ff
	s_mov_b32 s13, 0xbfee6f0e
	;; [unrolled: 1-line block ×15, first 2 shown]
	s_waitcnt vmcnt(1) lgkmcnt(1)
	v_mul_f64 v[167:168], v[159:160], v[150:151]
	v_mul_f64 v[150:151], v[157:158], v[150:151]
	s_delay_alu instid0(VALU_DEP_2) | instskip(NEXT) | instid1(VALU_DEP_2)
	v_fma_f64 v[157:158], v[157:158], v[148:149], -v[167:168]
	v_fma_f64 v[159:160], v[159:160], v[148:149], v[150:151]
	s_waitcnt vmcnt(0) lgkmcnt(0)
	v_mul_f64 v[148:149], v[163:164], v[155:156]
	v_mul_f64 v[150:151], v[161:162], v[155:156]
	s_delay_alu instid0(VALU_DEP_2) | instskip(NEXT) | instid1(VALU_DEP_2)
	v_fma_f64 v[148:149], v[161:162], v[153:154], -v[148:149]
	v_fma_f64 v[150:151], v[163:164], v[153:154], v[150:151]
	s_clause 0x1
	global_load_b128 v[153:156], v[165:166], off offset:2880
	global_load_b128 v[161:164], v[173:174], off offset:2336
	ds_load_b128 v[165:168], v199 offset:2880
	ds_load_b128 v[169:172], v199 offset:4320
	s_waitcnt vmcnt(1) lgkmcnt(1)
	v_mul_f64 v[175:176], v[167:168], v[155:156]
	v_mul_f64 v[155:156], v[165:166], v[155:156]
	s_delay_alu instid0(VALU_DEP_2) | instskip(NEXT) | instid1(VALU_DEP_2)
	v_fma_f64 v[165:166], v[165:166], v[153:154], -v[175:176]
	v_fma_f64 v[167:168], v[167:168], v[153:154], v[155:156]
	s_waitcnt vmcnt(0) lgkmcnt(0)
	v_mul_f64 v[153:154], v[171:172], v[163:164]
	v_mul_f64 v[155:156], v[169:170], v[163:164]
	s_delay_alu instid0(VALU_DEP_2) | instskip(NEXT) | instid1(VALU_DEP_2)
	v_fma_f64 v[153:154], v[169:170], v[161:162], -v[153:154]
	v_fma_f64 v[155:156], v[171:172], v[161:162], v[155:156]
	s_clause 0x1
	global_load_b128 v[161:164], v[173:174], off offset:3776
	global_load_b128 v[169:172], v[181:182], off offset:1120
	ds_load_b128 v[173:176], v199 offset:5760
	ds_load_b128 v[177:180], v199 offset:7200
	;; [unrolled: 17-line block ×3, first 2 shown]
	s_waitcnt vmcnt(1) lgkmcnt(1)
	v_mul_f64 v[185:186], v[183:184], v[171:172]
	v_mul_f64 v[171:172], v[181:182], v[171:172]
	s_delay_alu instid0(VALU_DEP_2) | instskip(NEXT) | instid1(VALU_DEP_2)
	v_fma_f64 v[181:182], v[181:182], v[169:170], -v[185:186]
	v_fma_f64 v[183:184], v[183:184], v[169:170], v[171:172]
	s_waitcnt vmcnt(0) lgkmcnt(0)
	v_mul_f64 v[169:170], v[193:194], v[179:180]
	v_mul_f64 v[171:172], v[191:192], v[179:180]
	v_add_co_u32 v185, s0, 0x6000, v201
	s_delay_alu instid0(VALU_DEP_1) | instskip(SKIP_1) | instid1(VALU_DEP_4)
	v_add_co_ci_u32_e64 v186, s0, 0, v202, s0
	s_mov_b32 s0, s8
	v_fma_f64 v[169:170], v[191:192], v[177:178], -v[169:170]
	s_delay_alu instid0(VALU_DEP_4)
	v_fma_f64 v[171:172], v[193:194], v[177:178], v[171:172]
	s_clause 0x1
	global_load_b128 v[177:180], v[185:186], off offset:1344
	global_load_b128 v[191:194], v[185:186], off offset:2784
	ds_load_b128 v[195:198], v199 offset:11520
	ds_load_b128 v[207:210], v199 offset:12960
	s_waitcnt vmcnt(1) lgkmcnt(1)
	v_mul_f64 v[185:186], v[197:198], v[179:180]
	v_mul_f64 v[179:180], v[195:196], v[179:180]
	s_delay_alu instid0(VALU_DEP_2) | instskip(NEXT) | instid1(VALU_DEP_2)
	v_fma_f64 v[195:196], v[195:196], v[177:178], -v[185:186]
	v_fma_f64 v[197:198], v[197:198], v[177:178], v[179:180]
	s_waitcnt vmcnt(0) lgkmcnt(0)
	v_mul_f64 v[177:178], v[209:210], v[193:194]
	v_mul_f64 v[179:180], v[207:208], v[193:194]
	s_delay_alu instid0(VALU_DEP_2) | instskip(NEXT) | instid1(VALU_DEP_2)
	v_fma_f64 v[177:178], v[207:208], v[191:192], -v[177:178]
	v_fma_f64 v[179:180], v[209:210], v[191:192], v[179:180]
	ds_store_b128 v199, v[157:160]
	ds_store_b128 v199, v[148:151] offset:1440
	ds_store_b128 v199, v[165:168] offset:2880
	;; [unrolled: 1-line block ×9, first 2 shown]
	s_waitcnt lgkmcnt(0)
	s_barrier
	buffer_gl0_inv
	ds_load_b128 v[148:151], v199
	ds_load_b128 v[153:156], v199 offset:2880
	ds_load_b128 v[157:160], v199 offset:4320
	;; [unrolled: 1-line block ×7, first 2 shown]
	s_waitcnt lgkmcnt(6)
	v_add_f64 v[181:182], v[148:149], v[153:154]
	v_add_f64 v[183:184], v[150:151], v[155:156]
	s_waitcnt lgkmcnt(3)
	v_add_f64 v[185:186], v[153:154], v[165:166]
	v_add_f64 v[191:192], v[155:156], v[167:168]
	v_add_f64 v[193:194], v[155:156], -v[167:168]
	v_add_f64 v[195:196], v[153:154], -v[165:166]
	s_waitcnt lgkmcnt(1)
	v_add_f64 v[197:198], v[153:154], -v[173:174]
	v_add_f64 v[201:202], v[173:174], -v[153:154]
	;; [unrolled: 1-line block ×5, first 2 shown]
	s_waitcnt lgkmcnt(0)
	v_add_f64 v[231:232], v[157:158], -v[177:178]
	v_add_f64 v[237:238], v[177:178], -v[157:158]
	;; [unrolled: 1-line block ×5, first 2 shown]
	v_add_f64 v[211:212], v[181:182], v[173:174]
	v_add_f64 v[213:214], v[183:184], v[175:176]
	ds_load_b128 v[153:156], v199 offset:8640
	ds_load_b128 v[181:184], v199 offset:10080
	v_fma_f64 v[185:186], v[185:186], -0.5, v[148:149]
	v_fma_f64 v[191:192], v[191:192], -0.5, v[150:151]
	s_waitcnt lgkmcnt(0)
	s_barrier
	buffer_gl0_inv
	v_add_f64 v[215:216], v[173:174], v[153:154]
	v_add_f64 v[221:222], v[173:174], -v[153:154]
	v_add_f64 v[217:218], v[175:176], v[155:156]
	v_add_f64 v[219:220], v[175:176], -v[155:156]
	v_add_f64 v[223:224], v[167:168], -v[155:156]
	;; [unrolled: 1-line block ×5, first 2 shown]
	v_add_f64 v[173:174], v[211:212], v[153:154]
	v_add_f64 v[175:176], v[213:214], v[155:156]
	v_add_f64 v[211:212], v[165:166], -v[153:154]
	v_add_f64 v[213:214], v[153:154], -v[165:166]
	v_fma_f64 v[215:216], v[215:216], -0.5, v[148:149]
	v_fma_f64 v[217:218], v[217:218], -0.5, v[150:151]
	v_add_f64 v[207:208], v[207:208], v[223:224]
	v_add_f64 v[153:154], v[173:174], v[165:166]
	;; [unrolled: 1-line block ×12, first 2 shown]
	v_add_f64 v[179:180], v[171:172], -v[183:184]
	v_add_f64 v[177:178], v[169:170], -v[181:182]
	v_fma_f64 v[175:176], v[175:176], -0.5, v[161:162]
	v_fma_f64 v[173:174], v[173:174], -0.5, v[163:164]
	v_add_f64 v[157:158], v[157:158], v[181:182]
	v_fma_f64 v[243:244], v[165:166], -0.5, v[163:164]
	v_add_f64 v[159:160], v[159:160], v[183:184]
	v_fma_f64 v[245:246], v[167:168], -0.5, v[161:162]
	v_add_f64 v[233:234], v[233:234], v[179:180]
	v_add_f64 v[231:232], v[231:232], v[177:178]
	v_add_f64 v[183:184], v[183:184], -v[171:172]
	v_add_f64 v[181:182], v[181:182], -v[169:170]
	v_add_f64 v[157:158], v[157:158], v[169:170]
	v_add_f64 v[159:160], v[159:160], v[171:172]
	s_delay_alu instid0(VALU_DEP_4) | instskip(NEXT) | instid1(VALU_DEP_4)
	v_add_f64 v[177:178], v[235:236], v[183:184]
	v_add_f64 v[179:180], v[237:238], v[181:182]
	;; [unrolled: 1-line block ×5, first 2 shown]
	v_add_f64 v[153:154], v[153:154], -v[157:158]
	v_fma_f64 v[157:158], v[227:228], s[14:15], v[243:244]
	v_add_f64 v[150:151], v[155:156], v[159:160]
	v_add_f64 v[155:156], v[155:156], -v[159:160]
	v_fma_f64 v[159:160], v[229:230], s[12:13], v[245:246]
	s_delay_alu instid0(VALU_DEP_4) | instskip(NEXT) | instid1(VALU_DEP_2)
	v_fma_f64 v[157:158], v[239:240], s[0:1], v[157:158]
	v_fma_f64 v[159:160], v[241:242], s[8:9], v[159:160]
	s_delay_alu instid0(VALU_DEP_2) | instskip(NEXT) | instid1(VALU_DEP_2)
	v_fma_f64 v[157:158], v[233:234], s[10:11], v[157:158]
	v_fma_f64 v[159:160], v[231:232], s[10:11], v[159:160]
	s_delay_alu instid0(VALU_DEP_2) | instskip(NEXT) | instid1(VALU_DEP_1)
	v_mul_f64 v[161:162], v[157:158], s[8:9]
	v_fma_f64 v[161:162], v[159:160], s[20:21], v[161:162]
	v_mul_f64 v[159:160], v[159:160], s[0:1]
	s_delay_alu instid0(VALU_DEP_1) | instskip(SKIP_2) | instid1(VALU_DEP_2)
	v_fma_f64 v[163:164], v[157:158], s[20:21], v[159:160]
	v_fma_f64 v[157:158], v[193:194], s[12:13], v[215:216]
	;; [unrolled: 1-line block ×4, first 2 shown]
	s_delay_alu instid0(VALU_DEP_2) | instskip(NEXT) | instid1(VALU_DEP_2)
	v_fma_f64 v[159:160], v[221:222], s[0:1], v[159:160]
	v_fma_f64 v[165:166], v[197:198], s[10:11], v[157:158]
	s_delay_alu instid0(VALU_DEP_2) | instskip(NEXT) | instid1(VALU_DEP_2)
	v_fma_f64 v[167:168], v[207:208], s[10:11], v[159:160]
	v_add_f64 v[157:158], v[165:166], v[161:162]
	v_add_f64 v[161:162], v[165:166], -v[161:162]
	v_fma_f64 v[165:166], v[239:240], s[12:13], v[173:174]
	s_delay_alu instid0(VALU_DEP_4)
	v_add_f64 v[159:160], v[167:168], v[163:164]
	v_add_f64 v[163:164], v[167:168], -v[163:164]
	v_fma_f64 v[167:168], v[241:242], s[14:15], v[175:176]
	v_fma_f64 v[173:174], v[239:240], s[14:15], v[173:174]
	;; [unrolled: 1-line block ×4, first 2 shown]
	s_delay_alu instid0(VALU_DEP_4) | instskip(NEXT) | instid1(VALU_DEP_4)
	v_fma_f64 v[167:168], v[229:230], s[8:9], v[167:168]
	v_fma_f64 v[173:174], v[227:228], s[8:9], v[173:174]
	s_delay_alu instid0(VALU_DEP_4) | instskip(NEXT) | instid1(VALU_DEP_4)
	v_fma_f64 v[175:176], v[229:230], s[0:1], v[175:176]
	v_fma_f64 v[165:166], v[177:178], s[10:11], v[165:166]
	;; [unrolled: 3-line block ×3, first 2 shown]
	v_fma_f64 v[177:178], v[219:220], s[12:13], v[185:186]
	v_fma_f64 v[175:176], v[179:180], s[10:11], v[175:176]
	;; [unrolled: 1-line block ×3, first 2 shown]
	v_mul_f64 v[169:170], v[165:166], s[12:13]
	v_mul_f64 v[165:166], v[165:166], s[10:11]
	v_fma_f64 v[177:178], v[193:194], s[0:1], v[177:178]
	s_delay_alu instid0(VALU_DEP_4) | instskip(NEXT) | instid1(VALU_DEP_4)
	v_fma_f64 v[179:180], v[195:196], s[8:9], v[179:180]
	v_fma_f64 v[169:170], v[167:168], s[10:11], v[169:170]
	s_delay_alu instid0(VALU_DEP_4)
	v_fma_f64 v[171:172], v[167:168], s[14:15], v[165:166]
	v_fma_f64 v[165:166], v[219:220], s[14:15], v[185:186]
	v_fma_f64 v[167:168], v[221:222], s[12:13], v[191:192]
	v_fma_f64 v[191:192], v[195:196], s[12:13], v[217:218]
	v_fma_f64 v[177:178], v[181:182], s[10:11], v[177:178]
	v_fma_f64 v[185:186], v[193:194], s[14:15], v[215:216]
	v_fma_f64 v[179:180], v[183:184], s[10:11], v[179:180]
	v_fma_f64 v[165:166], v[193:194], s[8:9], v[165:166]
	v_fma_f64 v[167:168], v[195:196], s[0:1], v[167:168]
	v_fma_f64 v[191:192], v[221:222], s[8:9], v[191:192]
	v_fma_f64 v[185:186], v[219:220], s[0:1], v[185:186]
	s_delay_alu instid0(VALU_DEP_4)
	v_fma_f64 v[201:202], v[181:182], s[10:11], v[165:166]
	v_mul_f64 v[181:182], v[173:174], s[12:13]
	v_mul_f64 v[173:174], v[173:174], s[16:17]
	v_fma_f64 v[209:210], v[183:184], s[10:11], v[167:168]
	v_fma_f64 v[193:194], v[207:208], s[10:11], v[191:192]
	;; [unrolled: 1-line block ×3, first 2 shown]
	v_add_f64 v[165:166], v[201:202], v[169:170]
	v_fma_f64 v[181:182], v[175:176], s[16:17], v[181:182]
	v_fma_f64 v[183:184], v[175:176], s[14:15], v[173:174]
	v_add_f64 v[167:168], v[209:210], v[171:172]
	v_add_f64 v[169:170], v[201:202], -v[169:170]
	v_add_f64 v[171:172], v[209:210], -v[171:172]
	v_add_f64 v[173:174], v[177:178], v[181:182]
	v_add_f64 v[177:178], v[177:178], -v[181:182]
	v_fma_f64 v[181:182], v[227:228], s[12:13], v[243:244]
	v_add_f64 v[175:176], v[179:180], v[183:184]
	v_add_f64 v[179:180], v[179:180], -v[183:184]
	v_fma_f64 v[183:184], v[229:230], s[14:15], v[245:246]
	s_delay_alu instid0(VALU_DEP_4) | instskip(NEXT) | instid1(VALU_DEP_2)
	v_fma_f64 v[181:182], v[239:240], s[8:9], v[181:182]
	v_fma_f64 v[183:184], v[241:242], s[0:1], v[183:184]
	s_delay_alu instid0(VALU_DEP_2) | instskip(NEXT) | instid1(VALU_DEP_2)
	v_fma_f64 v[181:182], v[233:234], s[10:11], v[181:182]
	v_fma_f64 v[183:184], v[231:232], s[10:11], v[183:184]
	s_delay_alu instid0(VALU_DEP_2) | instskip(SKIP_1) | instid1(VALU_DEP_2)
	v_mul_f64 v[191:192], v[181:182], s[8:9]
	v_mul_f64 v[181:182], v[181:182], s[18:19]
	v_fma_f64 v[191:192], v[183:184], s[18:19], v[191:192]
	s_delay_alu instid0(VALU_DEP_2) | instskip(NEXT) | instid1(VALU_DEP_2)
	v_fma_f64 v[195:196], v[183:184], s[0:1], v[181:182]
	v_add_f64 v[181:182], v[185:186], v[191:192]
	s_delay_alu instid0(VALU_DEP_2)
	v_add_f64 v[183:184], v[193:194], v[195:196]
	v_add_f64 v[191:192], v[185:186], -v[191:192]
	v_add_f64 v[193:194], v[193:194], -v[195:196]
	ds_store_b128 v204, v[148:151]
	ds_store_b128 v204, v[157:160] offset:16
	ds_store_b128 v204, v[165:168] offset:32
	;; [unrolled: 1-line block ×9, first 2 shown]
	s_waitcnt lgkmcnt(0)
	s_barrier
	buffer_gl0_inv
	ds_load_b128 v[148:151], v199 offset:4320
	ds_load_b128 v[153:156], v199 offset:2880
	s_waitcnt lgkmcnt(1)
	v_mul_f64 v[157:158], v[74:75], v[148:149]
	v_mul_f64 v[74:75], v[74:75], v[150:151]
	s_delay_alu instid0(VALU_DEP_2) | instskip(NEXT) | instid1(VALU_DEP_2)
	v_fma_f64 v[157:158], v[72:73], v[150:151], -v[157:158]
	v_fma_f64 v[159:160], v[72:73], v[148:149], v[74:75]
	ds_load_b128 v[72:75], v199 offset:7200
	ds_load_b128 v[148:151], v199 offset:5760
	s_waitcnt lgkmcnt(1)
	v_mul_f64 v[161:162], v[50:51], v[72:73]
	v_mul_f64 v[50:51], v[50:51], v[74:75]
	s_delay_alu instid0(VALU_DEP_2) | instskip(NEXT) | instid1(VALU_DEP_2)
	v_fma_f64 v[161:162], v[48:49], v[74:75], -v[161:162]
	v_fma_f64 v[163:164], v[48:49], v[72:73], v[50:51]
	ds_load_b128 v[48:51], v199 offset:10080
	ds_load_b128 v[72:75], v199 offset:8640
	s_waitcnt lgkmcnt(1)
	v_mul_f64 v[165:166], v[46:47], v[48:49]
	v_mul_f64 v[46:47], v[46:47], v[50:51]
	s_delay_alu instid0(VALU_DEP_2) | instskip(NEXT) | instid1(VALU_DEP_2)
	v_fma_f64 v[165:166], v[44:45], v[50:51], -v[165:166]
	v_fma_f64 v[167:168], v[44:45], v[48:49], v[46:47]
	ds_load_b128 v[44:47], v199 offset:12960
	ds_load_b128 v[48:51], v199 offset:11520
	s_waitcnt lgkmcnt(1)
	v_mul_f64 v[169:170], v[70:71], v[44:45]
	v_add_f64 v[195:196], v[161:162], -v[165:166]
	v_add_f64 v[191:192], v[163:164], -v[167:168]
	s_delay_alu instid0(VALU_DEP_3) | instskip(SKIP_1) | instid1(VALU_DEP_2)
	v_fma_f64 v[169:170], v[68:69], v[46:47], -v[169:170]
	v_mul_f64 v[46:47], v[70:71], v[46:47]
	v_add_f64 v[193:194], v[157:158], -v[169:170]
	s_delay_alu instid0(VALU_DEP_2) | instskip(SKIP_1) | instid1(VALU_DEP_2)
	v_fma_f64 v[68:69], v[68:69], v[44:45], v[46:47]
	v_mul_f64 v[44:45], v[66:67], v[155:156]
	v_add_f64 v[185:186], v[159:160], -v[68:69]
	s_delay_alu instid0(VALU_DEP_2) | instskip(SKIP_1) | instid1(VALU_DEP_1)
	v_fma_f64 v[70:71], v[64:65], v[153:154], v[44:45]
	v_mul_f64 v[44:45], v[66:67], v[153:154]
	v_fma_f64 v[64:65], v[64:65], v[155:156], -v[44:45]
	v_mul_f64 v[44:45], v[62:63], v[150:151]
	s_delay_alu instid0(VALU_DEP_1) | instskip(SKIP_1) | instid1(VALU_DEP_1)
	v_fma_f64 v[66:67], v[60:61], v[148:149], v[44:45]
	v_mul_f64 v[44:45], v[62:63], v[148:149]
	v_fma_f64 v[60:61], v[60:61], v[150:151], -v[44:45]
	v_mul_f64 v[44:45], v[58:59], v[74:75]
	s_delay_alu instid0(VALU_DEP_1) | instskip(SKIP_1) | instid1(VALU_DEP_2)
	v_fma_f64 v[62:63], v[56:57], v[72:73], v[44:45]
	v_mul_f64 v[44:45], v[58:59], v[72:73]
	v_add_f64 v[209:210], v[66:67], -v[62:63]
	s_delay_alu instid0(VALU_DEP_2) | instskip(SKIP_2) | instid1(VALU_DEP_2)
	v_fma_f64 v[72:73], v[56:57], v[74:75], -v[44:45]
	s_waitcnt lgkmcnt(0)
	v_mul_f64 v[44:45], v[54:55], v[50:51]
	v_add_f64 v[201:202], v[60:61], -v[72:73]
	s_delay_alu instid0(VALU_DEP_2) | instskip(SKIP_1) | instid1(VALU_DEP_2)
	v_fma_f64 v[74:75], v[52:53], v[48:49], v[44:45]
	v_mul_f64 v[44:45], v[54:55], v[48:49]
	v_add_f64 v[207:208], v[70:71], -v[74:75]
	s_delay_alu instid0(VALU_DEP_2)
	v_fma_f64 v[148:149], v[52:53], v[50:51], -v[44:45]
	ds_load_b128 v[44:47], v199 offset:1440
	ds_load_b128 v[48:51], v199
	s_waitcnt lgkmcnt(0)
	s_barrier
	buffer_gl0_inv
	v_mul_f64 v[52:53], v[42:43], v[44:45]
	v_mul_f64 v[42:43], v[42:43], v[46:47]
	v_add_f64 v[197:198], v[64:65], -v[148:149]
	s_delay_alu instid0(VALU_DEP_3) | instskip(NEXT) | instid1(VALU_DEP_3)
	v_fma_f64 v[150:151], v[40:41], v[46:47], -v[52:53]
	v_fma_f64 v[40:41], v[40:41], v[44:45], v[42:43]
	v_add_f64 v[44:45], v[70:71], v[74:75]
	v_add_f64 v[42:43], v[66:67], v[62:63]
	;; [unrolled: 1-line block ×3, first 2 shown]
	s_delay_alu instid0(VALU_DEP_3) | instskip(SKIP_1) | instid1(VALU_DEP_4)
	v_fma_f64 v[153:154], v[44:45], -0.5, v[48:49]
	v_add_f64 v[44:45], v[60:61], v[72:73]
	v_fma_f64 v[42:43], v[42:43], -0.5, v[48:49]
	s_delay_alu instid0(VALU_DEP_4) | instskip(NEXT) | instid1(VALU_DEP_3)
	v_add_f64 v[46:47], v[46:47], v[60:61]
	v_fma_f64 v[155:156], v[44:45], -0.5, v[50:51]
	v_add_f64 v[44:45], v[64:65], v[148:149]
	s_delay_alu instid0(VALU_DEP_3) | instskip(NEXT) | instid1(VALU_DEP_2)
	v_add_f64 v[46:47], v[46:47], v[72:73]
	v_fma_f64 v[171:172], v[44:45], -0.5, v[50:51]
	v_add_f64 v[44:45], v[48:49], v[70:71]
	v_add_f64 v[48:49], v[40:41], v[159:160]
	;; [unrolled: 1-line block ×4, first 2 shown]
	s_delay_alu instid0(VALU_DEP_4) | instskip(NEXT) | instid1(VALU_DEP_4)
	v_add_f64 v[44:45], v[44:45], v[66:67]
	v_add_f64 v[48:49], v[48:49], v[163:164]
	s_delay_alu instid0(VALU_DEP_4) | instskip(NEXT) | instid1(VALU_DEP_3)
	v_add_f64 v[50:51], v[50:51], v[161:162]
	v_add_f64 v[44:45], v[44:45], v[62:63]
	s_delay_alu instid0(VALU_DEP_3) | instskip(NEXT) | instid1(VALU_DEP_3)
	v_add_f64 v[48:49], v[48:49], v[167:168]
	v_add_f64 v[50:51], v[50:51], v[165:166]
	s_delay_alu instid0(VALU_DEP_3) | instskip(NEXT) | instid1(VALU_DEP_3)
	v_add_f64 v[52:53], v[44:45], v[74:75]
	v_add_f64 v[48:49], v[48:49], v[68:69]
	s_delay_alu instid0(VALU_DEP_3) | instskip(NEXT) | instid1(VALU_DEP_2)
	v_add_f64 v[50:51], v[50:51], v[169:170]
	v_add_f64 v[44:45], v[52:53], v[48:49]
	s_delay_alu instid0(VALU_DEP_2) | instskip(SKIP_4) | instid1(VALU_DEP_1)
	v_add_f64 v[46:47], v[54:55], v[50:51]
	v_add_f64 v[48:49], v[52:53], -v[48:49]
	v_add_f64 v[50:51], v[54:55], -v[50:51]
	;; [unrolled: 1-line block ×4, first 2 shown]
	v_add_f64 v[173:174], v[52:53], v[54:55]
	v_add_f64 v[52:53], v[159:160], -v[163:164]
	v_add_f64 v[54:55], v[68:69], -v[167:168]
	s_delay_alu instid0(VALU_DEP_1) | instskip(SKIP_4) | instid1(VALU_DEP_3)
	v_add_f64 v[175:176], v[52:53], v[54:55]
	v_add_f64 v[52:53], v[70:71], -v[66:67]
	v_add_f64 v[54:55], v[74:75], -v[62:63]
	;; [unrolled: 1-line block ×4, first 2 shown]
	v_add_f64 v[177:178], v[52:53], v[54:55]
	v_add_f64 v[52:53], v[64:65], -v[60:61]
	v_add_f64 v[54:55], v[148:149], -v[72:73]
	;; [unrolled: 1-line block ×4, first 2 shown]
	v_add_f64 v[74:75], v[66:67], v[62:63]
	s_delay_alu instid0(VALU_DEP_4)
	v_add_f64 v[179:180], v[52:53], v[54:55]
	v_add_f64 v[52:53], v[161:162], v[165:166]
	v_add_f64 v[161:162], v[161:162], -v[157:158]
	v_add_f64 v[157:158], v[157:158], v[169:170]
	v_add_f64 v[165:166], v[165:166], -v[169:170]
	v_add_f64 v[148:149], v[60:61], v[64:65]
	v_fma_f64 v[181:182], v[52:53], -0.5, v[150:151]
	v_add_f64 v[52:53], v[163:164], v[167:168]
	v_add_f64 v[163:164], v[163:164], -v[159:160]
	v_add_f64 v[159:160], v[159:160], v[68:69]
	v_fma_f64 v[70:71], v[157:158], -0.5, v[150:151]
	v_add_f64 v[68:69], v[167:168], -v[68:69]
	v_add_f64 v[72:73], v[161:162], v[165:166]
	v_fma_f64 v[183:184], v[52:53], -0.5, v[40:41]
	v_fma_f64 v[52:53], v[185:186], s[14:15], v[181:182]
	v_fma_f64 v[40:41], v[159:160], -0.5, v[40:41]
	v_fma_f64 v[60:61], v[191:192], s[12:13], v[70:71]
	v_add_f64 v[68:69], v[163:164], v[68:69]
	v_fma_f64 v[70:71], v[191:192], s[14:15], v[70:71]
	v_fma_f64 v[54:55], v[193:194], s[12:13], v[183:184]
	;; [unrolled: 1-line block ×14, first 2 shown]
	v_mul_f64 v[56:57], v[52:53], s[8:9]
	v_fma_f64 v[62:63], v[68:69], s[10:11], v[62:63]
	v_fma_f64 v[40:41], v[68:69], s[10:11], v[40:41]
	v_fma_f64 v[68:69], v[201:202], s[12:13], v[153:154]
	v_mul_f64 v[64:65], v[60:61], s[12:13]
	v_mul_f64 v[60:61], v[60:61], s[10:11]
	;; [unrolled: 1-line block ×3, first 2 shown]
	v_fma_f64 v[56:57], v[54:55], s[20:21], v[56:57]
	v_fma_f64 v[68:69], v[197:198], s[0:1], v[68:69]
	;; [unrolled: 1-line block ×24, first 2 shown]
	v_mul_f64 v[68:69], v[70:71], s[12:13]
	v_mul_f64 v[70:71], v[70:71], s[16:17]
	v_add_f64 v[60:61], v[150:151], v[64:65]
	v_add_f64 v[64:65], v[150:151], -v[64:65]
	v_fma_f64 v[150:151], v[207:208], s[12:13], v[155:156]
	v_add_f64 v[62:63], v[157:158], v[66:67]
	v_add_f64 v[66:67], v[157:158], -v[66:67]
	v_add_f64 v[52:53], v[211:212], v[56:57]
	v_add_f64 v[54:55], v[213:214], v[58:59]
	v_add_f64 v[56:57], v[211:212], -v[56:57]
	v_add_f64 v[58:59], v[213:214], -v[58:59]
	v_fma_f64 v[148:149], v[40:41], s[16:17], v[68:69]
	v_fma_f64 v[40:41], v[40:41], s[14:15], v[70:71]
	;; [unrolled: 1-line block ×3, first 2 shown]
	s_delay_alu instid0(VALU_DEP_3) | instskip(NEXT) | instid1(VALU_DEP_3)
	v_add_f64 v[68:69], v[72:73], v[148:149]
	v_add_f64 v[70:71], v[74:75], v[40:41]
	v_add_f64 v[74:75], v[74:75], -v[40:41]
	v_fma_f64 v[40:41], v[185:186], s[12:13], v[181:182]
	v_add_f64 v[72:73], v[72:73], -v[148:149]
	v_fma_f64 v[148:149], v[193:194], s[14:15], v[183:184]
	v_fma_f64 v[153:154], v[179:180], s[10:11], v[150:151]
	s_delay_alu instid0(VALU_DEP_4) | instskip(NEXT) | instid1(VALU_DEP_3)
	v_fma_f64 v[40:41], v[191:192], s[8:9], v[40:41]
	v_fma_f64 v[148:149], v[195:196], s[0:1], v[148:149]
	s_delay_alu instid0(VALU_DEP_2) | instskip(NEXT) | instid1(VALU_DEP_2)
	v_fma_f64 v[40:41], v[173:174], s[10:11], v[40:41]
	v_fma_f64 v[148:149], v[175:176], s[10:11], v[148:149]
	s_delay_alu instid0(VALU_DEP_2) | instskip(SKIP_1) | instid1(VALU_DEP_2)
	v_mul_f64 v[150:151], v[40:41], s[8:9]
	v_mul_f64 v[40:41], v[40:41], s[18:19]
	v_fma_f64 v[155:156], v[148:149], s[18:19], v[150:151]
	s_delay_alu instid0(VALU_DEP_2) | instskip(NEXT) | instid1(VALU_DEP_2)
	v_fma_f64 v[157:158], v[148:149], s[0:1], v[40:41]
	v_add_f64 v[148:149], v[42:43], v[155:156]
	s_delay_alu instid0(VALU_DEP_2)
	v_add_f64 v[150:151], v[153:154], v[157:158]
	v_add_f64 v[40:41], v[42:43], -v[155:156]
	v_add_f64 v[42:43], v[153:154], -v[157:158]
	ds_store_b128 v203, v[44:47]
	ds_store_b128 v203, v[52:55] offset:160
	ds_store_b128 v203, v[60:63] offset:320
	;; [unrolled: 1-line block ×9, first 2 shown]
	s_waitcnt lgkmcnt(0)
	s_barrier
	buffer_gl0_inv
	ds_load_b128 v[48:51], v199
	ds_load_b128 v[44:47], v199 offset:1440
	ds_load_b128 v[68:71], v199 offset:9600
	;; [unrolled: 1-line block ×8, first 2 shown]
	s_and_saveexec_b32 s0, vcc_lo
	s_cbranch_execz .LBB0_11
; %bb.10:
	ds_load_b128 v[40:43], v199 offset:4320
	ds_load_b128 v[140:143], v199 offset:9120
	;; [unrolled: 1-line block ×3, first 2 shown]
.LBB0_11:
	s_or_b32 exec_lo, exec_lo, s0
	s_waitcnt lgkmcnt(4)
	v_mul_f64 v[153:154], v[98:99], v[150:151]
	v_mul_f64 v[155:156], v[86:87], v[70:71]
	;; [unrolled: 1-line block ×4, first 2 shown]
	s_waitcnt lgkmcnt(2)
	v_mul_f64 v[157:158], v[90:91], v[74:75]
	v_mul_f64 v[159:160], v[82:83], v[58:59]
	;; [unrolled: 1-line block ×4, first 2 shown]
	s_waitcnt lgkmcnt(1)
	v_mul_f64 v[165:166], v[114:115], v[142:143]
	s_waitcnt lgkmcnt(0)
	v_mul_f64 v[167:168], v[110:111], v[146:147]
	v_mul_f64 v[114:115], v[114:115], v[140:141]
	;; [unrolled: 1-line block ×7, first 2 shown]
	s_mov_b32 s0, 0xe8584caa
	s_mov_b32 s1, 0xbfebb67a
	;; [unrolled: 1-line block ×4, first 2 shown]
	s_barrier
	buffer_gl0_inv
	v_fma_f64 v[148:149], v[96:97], v[148:149], v[153:154]
	v_fma_f64 v[68:69], v[84:85], v[68:69], v[155:156]
	v_fma_f64 v[96:97], v[96:97], v[150:151], -v[98:99]
	v_fma_f64 v[70:71], v[84:85], v[70:71], -v[86:87]
	v_fma_f64 v[72:73], v[88:89], v[72:73], v[157:158]
	v_fma_f64 v[56:57], v[80:81], v[56:57], v[159:160]
	v_fma_f64 v[74:75], v[88:89], v[74:75], -v[90:91]
	v_fma_f64 v[58:59], v[80:81], v[58:59], -v[82:83]
	;; [unrolled: 4-line block ×4, first 2 shown]
	v_add_f64 v[110:111], v[48:49], v[148:149]
	v_add_f64 v[88:89], v[148:149], v[68:69]
	v_add_f64 v[90:91], v[96:97], v[70:71]
	v_add_f64 v[112:113], v[96:97], -v[70:71]
	v_add_f64 v[98:99], v[72:73], v[56:57]
	v_add_f64 v[96:97], v[50:51], v[96:97]
	;; [unrolled: 1-line block ×13, first 2 shown]
	v_add_f64 v[74:75], v[74:75], -v[58:59]
	v_add_f64 v[153:154], v[80:81], -v[82:83]
	v_fma_f64 v[48:49], v[88:89], -0.5, v[48:49]
	v_add_f64 v[88:89], v[148:149], -v[68:69]
	v_fma_f64 v[50:51], v[90:91], -0.5, v[50:51]
	;; [unrolled: 2-line block ×5, first 2 shown]
	v_add_f64 v[56:57], v[114:115], v[56:57]
	v_fma_f64 v[108:109], v[108:109], -0.5, v[42:43]
	v_add_f64 v[58:59], v[140:141], v[58:59]
	v_fma_f64 v[100:101], v[102:103], -0.5, v[52:53]
	v_add_f64 v[102:103], v[60:61], -v[64:65]
	v_fma_f64 v[104:105], v[104:105], -0.5, v[54:55]
	v_add_f64 v[52:53], v[110:111], v[68:69]
	v_add_f64 v[54:55], v[96:97], v[70:71]
	;; [unrolled: 1-line block ×6, first 2 shown]
	v_fma_f64 v[64:65], v[112:113], s[0:1], v[48:49]
	v_fma_f64 v[68:69], v[112:113], s[8:9], v[48:49]
	;; [unrolled: 1-line block ×16, first 2 shown]
	ds_store_b128 v199, v[52:55]
	ds_store_b128 v199, v[64:67] offset:1600
	ds_store_b128 v199, v[68:71] offset:3200
	ds_store_b128 v205, v[56:59]
	ds_store_b128 v205, v[72:75] offset:1600
	ds_store_b128 v205, v[80:83] offset:3200
	ds_store_b128 v206, v[60:63]
	ds_store_b128 v206, v[84:87] offset:1600
	ds_store_b128 v206, v[88:91] offset:3200
	s_and_saveexec_b32 s0, vcc_lo
	s_cbranch_execz .LBB0_13
; %bb.12:
	v_lshl_add_u32 v52, v190, 4, v200
	ds_store_b128 v52, v[40:43] offset:9600
	ds_store_b128 v52, v[44:47] offset:11200
	;; [unrolled: 1-line block ×3, first 2 shown]
.LBB0_13:
	s_or_b32 exec_lo, exec_lo, s0
	s_waitcnt lgkmcnt(0)
	s_barrier
	buffer_gl0_inv
	ds_load_b128 v[60:63], v199
	ds_load_b128 v[52:55], v199 offset:1440
	ds_load_b128 v[80:83], v199 offset:9600
	;; [unrolled: 1-line block ×8, first 2 shown]
	v_add_nc_u32_e32 v96, 0xb40, v199
	s_and_saveexec_b32 s0, vcc_lo
	s_cbranch_execz .LBB0_15
; %bb.14:
	ds_load_b128 v[40:43], v199 offset:4320
	ds_load_b128 v[44:47], v199 offset:9120
	;; [unrolled: 1-line block ×3, first 2 shown]
.LBB0_15:
	s_or_b32 exec_lo, exec_lo, s0
	s_waitcnt lgkmcnt(4)
	v_mul_f64 v[97:98], v[126:127], v[90:91]
	v_mul_f64 v[99:100], v[130:131], v[82:83]
	;; [unrolled: 1-line block ×4, first 2 shown]
	s_waitcnt lgkmcnt(2)
	v_mul_f64 v[105:106], v[118:119], v[86:87]
	v_mul_f64 v[107:108], v[122:123], v[66:67]
	;; [unrolled: 1-line block ×4, first 2 shown]
	s_waitcnt lgkmcnt(1)
	v_mul_f64 v[113:114], v[134:135], v[70:71]
	s_waitcnt lgkmcnt(0)
	v_mul_f64 v[118:119], v[138:139], v[74:75]
	v_mul_f64 v[122:123], v[134:135], v[68:69]
	;; [unrolled: 1-line block ×3, first 2 shown]
	s_mov_b32 s0, 0xe8584caa
	s_mov_b32 s1, 0xbfebb67a
	;; [unrolled: 1-line block ×3, first 2 shown]
	v_fma_f64 v[88:89], v[124:125], v[88:89], v[97:98]
	v_fma_f64 v[80:81], v[128:129], v[80:81], v[99:100]
	v_fma_f64 v[90:91], v[124:125], v[90:91], -v[101:102]
	v_fma_f64 v[82:83], v[128:129], v[82:83], -v[103:104]
	v_fma_f64 v[84:85], v[116:117], v[84:85], v[105:106]
	v_fma_f64 v[64:65], v[120:121], v[64:65], v[107:108]
	v_fma_f64 v[86:87], v[116:117], v[86:87], -v[109:110]
	v_fma_f64 v[66:67], v[120:121], v[66:67], -v[111:112]
	;; [unrolled: 4-line block ×3, first 2 shown]
	v_add_f64 v[109:110], v[60:61], v[88:89]
	v_add_f64 v[97:98], v[88:89], v[80:81]
	v_add_f64 v[88:89], v[88:89], -v[80:81]
	v_add_f64 v[99:100], v[90:91], v[82:83]
	v_add_f64 v[111:112], v[90:91], -v[82:83]
	v_add_f64 v[101:102], v[84:85], v[64:65]
	v_add_f64 v[90:91], v[62:63], v[90:91]
	;; [unrolled: 1-line block ×9, first 2 shown]
	v_add_f64 v[86:87], v[86:87], -v[66:67]
	v_add_f64 v[84:85], v[84:85], -v[64:65]
	;; [unrolled: 1-line block ×4, first 2 shown]
	v_fma_f64 v[97:98], v[97:98], -0.5, v[60:61]
	v_fma_f64 v[99:100], v[99:100], -0.5, v[62:63]
	;; [unrolled: 1-line block ×3, first 2 shown]
	v_add_f64 v[52:53], v[109:110], v[80:81]
	v_fma_f64 v[103:104], v[103:104], -0.5, v[54:55]
	v_add_f64 v[54:55], v[90:91], v[82:83]
	v_fma_f64 v[105:106], v[105:106], -0.5, v[56:57]
	;; [unrolled: 2-line block ×3, first 2 shown]
	v_add_f64 v[58:59], v[115:116], v[66:67]
	v_add_f64 v[60:61], v[117:118], v[72:73]
	;; [unrolled: 1-line block ×3, first 2 shown]
	v_fma_f64 v[64:65], v[111:112], s[0:1], v[97:98]
	v_fma_f64 v[68:69], v[111:112], s[8:9], v[97:98]
	;; [unrolled: 1-line block ×12, first 2 shown]
	ds_store_b128 v199, v[52:55]
	ds_store_b128 v152, v[64:67] offset:4800
	ds_store_b128 v152, v[68:71] offset:9600
	;; [unrolled: 1-line block ×8, first 2 shown]
	s_and_saveexec_b32 s10, vcc_lo
	s_cbranch_execz .LBB0_17
; %bb.16:
	v_mul_f64 v[52:53], v[78:79], v[44:45]
	v_mul_f64 v[54:55], v[94:95], v[48:49]
	;; [unrolled: 1-line block ×4, first 2 shown]
	s_delay_alu instid0(VALU_DEP_4) | instskip(NEXT) | instid1(VALU_DEP_4)
	v_fma_f64 v[46:47], v[76:77], v[46:47], -v[52:53]
	v_fma_f64 v[50:51], v[92:93], v[50:51], -v[54:55]
	s_delay_alu instid0(VALU_DEP_4) | instskip(NEXT) | instid1(VALU_DEP_4)
	v_fma_f64 v[44:45], v[76:77], v[44:45], v[56:57]
	v_fma_f64 v[48:49], v[92:93], v[48:49], v[58:59]
	s_delay_alu instid0(VALU_DEP_4) | instskip(NEXT) | instid1(VALU_DEP_4)
	v_add_f64 v[58:59], v[42:43], v[46:47]
	v_add_f64 v[52:53], v[46:47], v[50:51]
	v_add_f64 v[60:61], v[46:47], -v[50:51]
	s_delay_alu instid0(VALU_DEP_4)
	v_add_f64 v[54:55], v[44:45], v[48:49]
	v_add_f64 v[56:57], v[44:45], -v[48:49]
	v_add_f64 v[44:45], v[40:41], v[44:45]
	v_fma_f64 v[52:53], v[52:53], -0.5, v[42:43]
	v_add_f64 v[42:43], v[58:59], v[50:51]
	v_fma_f64 v[54:55], v[54:55], -0.5, v[40:41]
	s_delay_alu instid0(VALU_DEP_4) | instskip(NEXT) | instid1(VALU_DEP_4)
	v_add_f64 v[40:41], v[44:45], v[48:49]
	v_fma_f64 v[50:51], v[56:57], s[8:9], v[52:53]
	v_fma_f64 v[46:47], v[56:57], s[0:1], v[52:53]
	s_delay_alu instid0(VALU_DEP_4)
	v_fma_f64 v[48:49], v[60:61], s[0:1], v[54:55]
	v_fma_f64 v[44:45], v[60:61], s[8:9], v[54:55]
	ds_store_b128 v199, v[40:43] offset:4320
	ds_store_b128 v152, v[48:51] offset:9120
	;; [unrolled: 1-line block ×3, first 2 shown]
.LBB0_17:
	s_or_b32 exec_lo, exec_lo, s10
	s_waitcnt lgkmcnt(0)
	s_barrier
	buffer_gl0_inv
	ds_load_b128 v[40:43], v199
	ds_load_b128 v[44:47], v199 offset:1440
	ds_load_b128 v[48:51], v199 offset:2880
	;; [unrolled: 1-line block ×9, first 2 shown]
	v_mad_u64_u32 v[80:81], null, s6, v188, 0
	v_mad_u64_u32 v[82:83], null, s4, v189, 0
	s_mul_i32 s0, s5, 0x5a0
	s_mul_hi_u32 s1, s4, 0x5a0
	s_delay_alu instid0(VALU_DEP_1)
	v_mad_u64_u32 v[104:105], null, s7, v188, v[81:82]
	s_waitcnt lgkmcnt(9)
	v_mul_f64 v[84:85], v[2:3], v[42:43]
	v_mul_f64 v[2:3], v[2:3], v[40:41]
	s_waitcnt lgkmcnt(8)
	v_mul_f64 v[86:87], v[6:7], v[46:47]
	v_mul_f64 v[6:7], v[6:7], v[44:45]
	;; [unrolled: 3-line block ×10, first 2 shown]
	v_mov_b32_e32 v81, v104
	s_delay_alu instid0(VALU_DEP_1)
	v_lshlrev_b64 v[80:81], 4, v[80:81]
	v_fma_f64 v[40:41], v[0:1], v[40:41], v[84:85]
	v_fma_f64 v[2:3], v[0:1], v[42:43], -v[2:3]
	v_fma_f64 v[42:43], v[4:5], v[44:45], v[86:87]
	v_fma_f64 v[6:7], v[4:5], v[46:47], -v[6:7]
	;; [unrolled: 2-line block ×10, first 2 shown]
	v_mad_u64_u32 v[105:106], null, s5, v189, v[83:84]
	v_add_co_u32 v0, vcc_lo, s2, v80
	v_add_co_ci_u32_e32 v1, vcc_lo, s3, v81, vcc_lo
	s_add_i32 s3, s1, s0
	s_mov_b32 s0, 0x789abcdf
	s_delay_alu instid0(VALU_DEP_3) | instskip(SKIP_2) | instid1(VALU_DEP_1)
	v_mov_b32_e32 v83, v105
	s_mov_b32 s1, 0x3f523456
	s_mul_i32 s2, s4, 0x5a0
	v_lshlrev_b64 v[82:83], 4, v[82:83]
	s_delay_alu instid0(VALU_DEP_1) | instskip(NEXT) | instid1(VALU_DEP_2)
	v_add_co_u32 v60, vcc_lo, v0, v82
	v_add_co_ci_u32_e32 v61, vcc_lo, v1, v83, vcc_lo
	v_mul_f64 v[0:1], v[40:41], s[0:1]
	v_mul_f64 v[2:3], v[2:3], s[0:1]
	;; [unrolled: 1-line block ×6, first 2 shown]
	v_add_co_u32 v62, vcc_lo, v60, s2
	v_mul_f64 v[12:13], v[46:47], s[0:1]
	v_mul_f64 v[14:15], v[16:17], s[0:1]
	v_add_co_ci_u32_e32 v63, vcc_lo, s3, v61, vcc_lo
	s_delay_alu instid0(VALU_DEP_4)
	v_add_co_u32 v64, vcc_lo, v62, s2
	v_mul_f64 v[16:17], v[18:19], s[0:1]
	v_mul_f64 v[18:19], v[48:49], s[0:1]
	;; [unrolled: 1-line block ×6, first 2 shown]
	v_add_co_ci_u32_e32 v65, vcc_lo, s3, v63, vcc_lo
	v_mul_f64 v[28:29], v[30:31], s[0:1]
	v_mul_f64 v[30:31], v[54:55], s[0:1]
	;; [unrolled: 1-line block ×6, first 2 shown]
	v_add_co_u32 v40, vcc_lo, v64, s2
	v_add_co_ci_u32_e32 v41, vcc_lo, s3, v65, vcc_lo
	s_clause 0x3
	global_store_b128 v[60:61], v[0:3], off
	global_store_b128 v[62:63], v[4:7], off
	;; [unrolled: 1-line block ×4, first 2 shown]
	v_add_co_u32 v42, vcc_lo, v40, s2
	v_add_co_ci_u32_e32 v43, vcc_lo, s3, v41, vcc_lo
	s_delay_alu instid0(VALU_DEP_2) | instskip(NEXT) | instid1(VALU_DEP_2)
	v_add_co_u32 v44, vcc_lo, v42, s2
	v_add_co_ci_u32_e32 v45, vcc_lo, s3, v43, vcc_lo
	global_store_b128 v[42:43], v[16:19], off
	v_add_co_u32 v46, vcc_lo, v44, s2
	v_add_co_ci_u32_e32 v47, vcc_lo, s3, v45, vcc_lo
	s_delay_alu instid0(VALU_DEP_2) | instskip(NEXT) | instid1(VALU_DEP_2)
	v_add_co_u32 v48, vcc_lo, v46, s2
	v_add_co_ci_u32_e32 v49, vcc_lo, s3, v47, vcc_lo
	s_delay_alu instid0(VALU_DEP_2) | instskip(NEXT) | instid1(VALU_DEP_2)
	;; [unrolled: 3-line block ×3, first 2 shown]
	v_add_co_u32 v2, vcc_lo, v0, s2
	v_add_co_ci_u32_e32 v3, vcc_lo, s3, v1, vcc_lo
	global_store_b128 v[44:45], v[20:23], off
	global_store_b128 v[46:47], v[24:27], off
	;; [unrolled: 1-line block ×5, first 2 shown]
.LBB0_18:
	s_nop 0
	s_sendmsg sendmsg(MSG_DEALLOC_VGPRS)
	s_endpgm
	.section	.rodata,"a",@progbits
	.p2align	6, 0x0
	.amdhsa_kernel bluestein_single_fwd_len900_dim1_dp_op_CI_CI
		.amdhsa_group_segment_fixed_size 28800
		.amdhsa_private_segment_fixed_size 0
		.amdhsa_kernarg_size 104
		.amdhsa_user_sgpr_count 15
		.amdhsa_user_sgpr_dispatch_ptr 0
		.amdhsa_user_sgpr_queue_ptr 0
		.amdhsa_user_sgpr_kernarg_segment_ptr 1
		.amdhsa_user_sgpr_dispatch_id 0
		.amdhsa_user_sgpr_private_segment_size 0
		.amdhsa_wavefront_size32 1
		.amdhsa_uses_dynamic_stack 0
		.amdhsa_enable_private_segment 0
		.amdhsa_system_sgpr_workgroup_id_x 1
		.amdhsa_system_sgpr_workgroup_id_y 0
		.amdhsa_system_sgpr_workgroup_id_z 0
		.amdhsa_system_sgpr_workgroup_info 0
		.amdhsa_system_vgpr_workitem_id 0
		.amdhsa_next_free_vgpr 247
		.amdhsa_next_free_sgpr 22
		.amdhsa_reserve_vcc 1
		.amdhsa_float_round_mode_32 0
		.amdhsa_float_round_mode_16_64 0
		.amdhsa_float_denorm_mode_32 3
		.amdhsa_float_denorm_mode_16_64 3
		.amdhsa_dx10_clamp 1
		.amdhsa_ieee_mode 1
		.amdhsa_fp16_overflow 0
		.amdhsa_workgroup_processor_mode 1
		.amdhsa_memory_ordered 1
		.amdhsa_forward_progress 0
		.amdhsa_shared_vgpr_count 0
		.amdhsa_exception_fp_ieee_invalid_op 0
		.amdhsa_exception_fp_denorm_src 0
		.amdhsa_exception_fp_ieee_div_zero 0
		.amdhsa_exception_fp_ieee_overflow 0
		.amdhsa_exception_fp_ieee_underflow 0
		.amdhsa_exception_fp_ieee_inexact 0
		.amdhsa_exception_int_div_zero 0
	.end_amdhsa_kernel
	.text
.Lfunc_end0:
	.size	bluestein_single_fwd_len900_dim1_dp_op_CI_CI, .Lfunc_end0-bluestein_single_fwd_len900_dim1_dp_op_CI_CI
                                        ; -- End function
	.section	.AMDGPU.csdata,"",@progbits
; Kernel info:
; codeLenInByte = 14504
; NumSgprs: 24
; NumVgprs: 247
; ScratchSize: 0
; MemoryBound: 0
; FloatMode: 240
; IeeeMode: 1
; LDSByteSize: 28800 bytes/workgroup (compile time only)
; SGPRBlocks: 2
; VGPRBlocks: 30
; NumSGPRsForWavesPerEU: 24
; NumVGPRsForWavesPerEU: 247
; Occupancy: 5
; WaveLimiterHint : 1
; COMPUTE_PGM_RSRC2:SCRATCH_EN: 0
; COMPUTE_PGM_RSRC2:USER_SGPR: 15
; COMPUTE_PGM_RSRC2:TRAP_HANDLER: 0
; COMPUTE_PGM_RSRC2:TGID_X_EN: 1
; COMPUTE_PGM_RSRC2:TGID_Y_EN: 0
; COMPUTE_PGM_RSRC2:TGID_Z_EN: 0
; COMPUTE_PGM_RSRC2:TIDIG_COMP_CNT: 0
	.text
	.p2alignl 7, 3214868480
	.fill 96, 4, 3214868480
	.type	__hip_cuid_6c3791ba287e2e1b,@object ; @__hip_cuid_6c3791ba287e2e1b
	.section	.bss,"aw",@nobits
	.globl	__hip_cuid_6c3791ba287e2e1b
__hip_cuid_6c3791ba287e2e1b:
	.byte	0                               ; 0x0
	.size	__hip_cuid_6c3791ba287e2e1b, 1

	.ident	"AMD clang version 19.0.0git (https://github.com/RadeonOpenCompute/llvm-project roc-6.4.0 25133 c7fe45cf4b819c5991fe208aaa96edf142730f1d)"
	.section	".note.GNU-stack","",@progbits
	.addrsig
	.addrsig_sym __hip_cuid_6c3791ba287e2e1b
	.amdgpu_metadata
---
amdhsa.kernels:
  - .args:
      - .actual_access:  read_only
        .address_space:  global
        .offset:         0
        .size:           8
        .value_kind:     global_buffer
      - .actual_access:  read_only
        .address_space:  global
        .offset:         8
        .size:           8
        .value_kind:     global_buffer
      - .actual_access:  read_only
        .address_space:  global
        .offset:         16
        .size:           8
        .value_kind:     global_buffer
      - .actual_access:  read_only
        .address_space:  global
        .offset:         24
        .size:           8
        .value_kind:     global_buffer
      - .actual_access:  read_only
        .address_space:  global
        .offset:         32
        .size:           8
        .value_kind:     global_buffer
      - .offset:         40
        .size:           8
        .value_kind:     by_value
      - .address_space:  global
        .offset:         48
        .size:           8
        .value_kind:     global_buffer
      - .address_space:  global
        .offset:         56
        .size:           8
        .value_kind:     global_buffer
      - .address_space:  global
        .offset:         64
        .size:           8
        .value_kind:     global_buffer
      - .address_space:  global
        .offset:         72
        .size:           8
        .value_kind:     global_buffer
      - .offset:         80
        .size:           4
        .value_kind:     by_value
      - .address_space:  global
        .offset:         88
        .size:           8
        .value_kind:     global_buffer
      - .address_space:  global
        .offset:         96
        .size:           8
        .value_kind:     global_buffer
    .group_segment_fixed_size: 28800
    .kernarg_segment_align: 8
    .kernarg_segment_size: 104
    .language:       OpenCL C
    .language_version:
      - 2
      - 0
    .max_flat_workgroup_size: 180
    .name:           bluestein_single_fwd_len900_dim1_dp_op_CI_CI
    .private_segment_fixed_size: 0
    .sgpr_count:     24
    .sgpr_spill_count: 0
    .symbol:         bluestein_single_fwd_len900_dim1_dp_op_CI_CI.kd
    .uniform_work_group_size: 1
    .uses_dynamic_stack: false
    .vgpr_count:     247
    .vgpr_spill_count: 0
    .wavefront_size: 32
    .workgroup_processor_mode: 1
amdhsa.target:   amdgcn-amd-amdhsa--gfx1100
amdhsa.version:
  - 1
  - 2
...

	.end_amdgpu_metadata
